;; amdgpu-corpus repo=ROCm/rocFFT kind=compiled arch=gfx950 opt=O3
	.text
	.amdgcn_target "amdgcn-amd-amdhsa--gfx950"
	.amdhsa_code_object_version 6
	.protected	bluestein_single_fwd_len221_dim1_dp_op_CI_CI ; -- Begin function bluestein_single_fwd_len221_dim1_dp_op_CI_CI
	.globl	bluestein_single_fwd_len221_dim1_dp_op_CI_CI
	.p2align	8
	.type	bluestein_single_fwd_len221_dim1_dp_op_CI_CI,@function
bluestein_single_fwd_len221_dim1_dp_op_CI_CI: ; @bluestein_single_fwd_len221_dim1_dp_op_CI_CI
; %bb.0:
	s_load_dwordx4 s[8:11], s[0:1], 0x28
	v_mul_u32_u24_e32 v1, 0xf10, v0
	v_lshrrev_b32_e32 v2, 16, v1
	v_mad_u64_u32 v[168:169], s[2:3], s2, 7, v[2:3]
	v_mov_b32_e32 v169, 0
	s_waitcnt lgkmcnt(0)
	v_cmp_gt_u64_e32 vcc, s[8:9], v[168:169]
	s_and_saveexec_b64 s[2:3], vcc
	s_cbranch_execz .LBB0_15
; %bb.1:
	v_mul_lo_u16_e32 v1, 17, v2
	s_mov_b32 s2, 0x24924925
	v_sub_u16_e32 v194, v0, v1
	v_mul_hi_u32 v0, v168, s2
	v_sub_u32_e32 v1, v168, v0
	v_lshrrev_b32_e32 v1, 1, v1
	v_add_u32_e32 v0, v1, v0
	v_lshrrev_b32_e32 v0, 2, v0
	s_load_dwordx2 s[8:9], s[0:1], 0x0
	s_load_dwordx2 s[12:13], s[0:1], 0x38
	v_mul_lo_u32 v0, v0, 7
	v_sub_u32_e32 v0, v168, v0
	v_mul_u32_u24_e32 v195, 0xdd, v0
	v_lshlrev_b32_e32 v0, 4, v195
	v_cmp_gt_u16_e32 vcc, 13, v194
	v_lshlrev_b32_e32 v169, 4, v194
	v_accvgpr_write_b32 a1, v0
	s_and_saveexec_b64 s[2:3], vcc
	s_cbranch_execz .LBB0_3
; %bb.2:
	s_load_dwordx2 s[4:5], s[0:1], 0x18
	v_mov_b32_e32 v0, s10
	v_mov_b32_e32 v1, s11
	;; [unrolled: 1-line block ×3, first 2 shown]
	v_or_b32_e32 v133, 0xd0, v194
	s_waitcnt lgkmcnt(0)
	s_load_dwordx4 s[4:7], s[4:5], 0x0
	s_waitcnt lgkmcnt(0)
	v_mad_u64_u32 v[2:3], s[10:11], s6, v168, 0
	v_mad_u64_u32 v[4:5], s[10:11], s4, v194, 0
	v_mov_b32_e32 v6, v3
	v_mov_b32_e32 v8, v5
	v_mad_u64_u32 v[6:7], s[6:7], s7, v168, v[6:7]
	v_mov_b32_e32 v3, v6
	v_mad_u64_u32 v[6:7], s[6:7], s5, v194, v[8:9]
	v_mov_b32_e32 v5, v6
	v_lshl_add_u64 v[80:81], v[2:3], 4, v[0:1]
	v_lshl_add_u64 v[4:5], v[4:5], 4, v[80:81]
	v_mad_u64_u32 v[20:21], s[6:7], s4, v120, v[4:5]
	s_mul_i32 s6, s5, 0xd0
	s_nop 0
	v_add_u32_e32 v21, s6, v21
	global_load_dwordx4 v[0:3], v[4:5], off
	v_mad_u64_u32 v[22:23], s[10:11], s4, v120, v[20:21]
	global_load_dwordx4 v[4:7], v169, s[8:9]
	global_load_dwordx4 v[8:11], v169, s[8:9] offset:208
	v_add_u32_e32 v23, s6, v23
	v_mad_u64_u32 v[36:37], s[10:11], s4, v120, v[22:23]
	global_load_dwordx4 v[16:19], v[20:21], off
	global_load_dwordx4 v[12:15], v[22:23], off
	v_add_u32_e32 v37, s6, v37
	v_mad_u64_u32 v[38:39], s[10:11], s4, v120, v[36:37]
	global_load_dwordx4 v[20:23], v169, s[8:9] offset:416
	global_load_dwordx4 v[24:27], v169, s[8:9] offset:624
	v_add_u32_e32 v39, s6, v39
	v_mad_u64_u32 v[48:49], s[10:11], s4, v120, v[38:39]
	global_load_dwordx4 v[32:35], v[36:37], off
	global_load_dwordx4 v[28:31], v[38:39], off
	v_add_u32_e32 v49, s6, v49
	v_mad_u64_u32 v[52:53], s[10:11], s4, v120, v[48:49]
	global_load_dwordx4 v[36:39], v[48:49], off
	global_load_dwordx4 v[44:47], v169, s[8:9] offset:832
	global_load_dwordx4 v[40:43], v169, s[8:9] offset:1040
	v_add_u32_e32 v53, s6, v53
	v_mad_u64_u32 v[64:65], s[10:11], s4, v120, v[52:53]
	v_add_u32_e32 v65, s6, v65
	global_load_dwordx4 v[48:51], v[52:53], off
	v_mad_u64_u32 v[68:69], s[10:11], s4, v120, v[64:65]
	global_load_dwordx4 v[52:55], v[64:65], off
	global_load_dwordx4 v[60:63], v169, s[8:9] offset:1248
	global_load_dwordx4 v[56:59], v169, s[8:9] offset:1456
	v_add_u32_e32 v69, s6, v69
	v_mad_u64_u32 v[82:83], s[10:11], s4, v120, v[68:69]
	v_add_u32_e32 v83, s6, v83
	global_load_dwordx4 v[64:67], v[68:69], off
	;; [unrolled: 8-line block ×4, first 2 shown]
	v_mad_u64_u32 v[118:119], s[10:11], s4, v120, v[114:115]
	global_load_dwordx4 v[102:105], v[114:115], off
	global_load_dwordx4 v[106:109], v169, s[8:9] offset:2496
	global_load_dwordx4 v[110:113], v169, s[8:9] offset:2704
	v_add_u32_e32 v119, s6, v119
	global_load_dwordx4 v[114:117], v[118:119], off
	v_mad_u64_u32 v[118:119], s[10:11], s4, v120, v[118:119]
	v_add_u32_e32 v119, s6, v119
	v_mad_u64_u32 v[130:131], s[6:7], s4, v133, 0
	v_mov_b32_e32 v132, v131
	global_load_dwordx4 v[118:121], v[118:119], off
	s_nop 0
	global_load_dwordx4 v[122:125], v169, s[8:9] offset:2912
	global_load_dwordx4 v[126:129], v169, s[8:9] offset:3120
	v_mad_u64_u32 v[132:133], s[4:5], s5, v133, v[132:133]
	v_mov_b32_e32 v131, v132
	v_lshl_add_u64 v[80:81], v[130:131], 4, v[80:81]
	global_load_dwordx4 v[130:133], v[80:81], off
	global_load_dwordx4 v[138:141], v169, s[8:9] offset:3328
	v_accvgpr_read_b32 v81, a1
	v_lshl_add_u32 v80, v194, 4, v81
	s_waitcnt vmcnt(32)
	v_mul_f64 v[134:135], v[2:3], v[6:7]
	v_fmac_f64_e32 v[134:135], v[0:1], v[4:5]
	v_mul_f64 v[0:1], v[0:1], v[6:7]
	v_fma_f64 v[136:137], v[2:3], v[4:5], -v[0:1]
	s_waitcnt vmcnt(30)
	v_mul_f64 v[0:1], v[18:19], v[10:11]
	v_mul_f64 v[2:3], v[16:17], v[10:11]
	v_fmac_f64_e32 v[0:1], v[16:17], v[8:9]
	v_add_u32_e32 v4, v81, v169
	v_fma_f64 v[2:3], v[18:19], v[8:9], -v[2:3]
	ds_write_b128 v80, v[134:137]
	ds_write_b128 v4, v[0:3] offset:208
	s_waitcnt vmcnt(28)
	v_mul_f64 v[0:1], v[14:15], v[22:23]
	v_mul_f64 v[2:3], v[12:13], v[22:23]
	v_fmac_f64_e32 v[0:1], v[12:13], v[20:21]
	v_fma_f64 v[2:3], v[14:15], v[20:21], -v[2:3]
	ds_write_b128 v4, v[0:3] offset:416
	s_waitcnt vmcnt(26)
	v_mul_f64 v[0:1], v[34:35], v[26:27]
	v_mul_f64 v[2:3], v[32:33], v[26:27]
	v_fmac_f64_e32 v[0:1], v[32:33], v[24:25]
	v_fma_f64 v[2:3], v[34:35], v[24:25], -v[2:3]
	;; [unrolled: 6-line block ×15, first 2 shown]
	ds_write_b128 v4, v[0:3] offset:3328
.LBB0_3:
	s_or_b64 exec, exec, s[2:3]
	s_load_dwordx2 s[2:3], s[0:1], 0x20
	s_load_dwordx2 s[4:5], s[0:1], 0x8
	s_waitcnt lgkmcnt(0)
	s_barrier
	s_waitcnt lgkmcnt(0)
                                        ; implicit-def: $vgpr16_vgpr17
                                        ; implicit-def: $vgpr20_vgpr21
                                        ; implicit-def: $vgpr24_vgpr25
                                        ; implicit-def: $vgpr28_vgpr29
                                        ; implicit-def: $vgpr32_vgpr33
                                        ; implicit-def: $vgpr36_vgpr37
                                        ; implicit-def: $vgpr40_vgpr41
                                        ; implicit-def: $vgpr44_vgpr45
                                        ; implicit-def: $vgpr48_vgpr49
                                        ; implicit-def: $vgpr52_vgpr53
                                        ; implicit-def: $vgpr56_vgpr57
                                        ; implicit-def: $vgpr60_vgpr61
                                        ; implicit-def: $vgpr64_vgpr65
                                        ; implicit-def: $vgpr68_vgpr69
                                        ; implicit-def: $vgpr72_vgpr73
                                        ; implicit-def: $vgpr76_vgpr77
                                        ; implicit-def: $vgpr80_vgpr81
	s_and_saveexec_b64 s[0:1], vcc
	s_cbranch_execz .LBB0_5
; %bb.4:
	v_lshl_add_u32 v0, v195, 4, v169
	ds_read_b128 v[16:19], v0
	ds_read_b128 v[20:23], v0 offset:208
	ds_read_b128 v[24:27], v0 offset:416
	;; [unrolled: 1-line block ×16, first 2 shown]
.LBB0_5:
	s_or_b64 exec, exec, s[0:1]
	s_mov_b32 s24, 0x5d8e7cdc
	s_waitcnt lgkmcnt(0)
	v_add_f64 v[108:109], v[22:23], -v[82:83]
	s_mov_b32 s0, 0x370991
	s_mov_b32 s25, 0xbfd71e95
	;; [unrolled: 1-line block ×3, first 2 shown]
	v_add_f64 v[136:137], v[20:21], v[80:81]
	v_add_f64 v[112:113], v[20:21], -v[80:81]
	s_mov_b32 s1, 0x3fedd6d0
	v_mul_f64 v[90:91], v[108:109], s[24:25]
	s_mov_b32 s14, 0x75d4884
	s_mov_b32 s31, 0xbfe58eea
	v_add_f64 v[110:111], v[26:27], -v[78:79]
	v_add_f64 v[138:139], v[22:23], v[82:83]
	v_mul_f64 v[92:93], v[112:113], s[24:25]
	v_fma_f64 v[0:1], s[0:1], v[136:137], v[90:91]
	s_mov_b32 s15, 0x3fe7a5f6
	s_mov_b32 s28, 0x7c9e640b
	v_add_f64 v[144:145], v[24:25], v[76:77]
	v_add_f64 v[114:115], v[24:25], -v[76:77]
	v_mul_f64 v[94:95], v[110:111], s[30:31]
	v_add_f64 v[0:1], v[16:17], v[0:1]
	v_fma_f64 v[2:3], v[138:139], s[0:1], -v[92:93]
	s_mov_b32 s6, 0x2b2883cd
	s_mov_b32 s29, 0xbfeca52d
	v_add_f64 v[148:149], v[26:27], v[78:79]
	v_mul_f64 v[96:97], v[114:115], s[30:31]
	v_fma_f64 v[4:5], s[14:15], v[144:145], v[94:95]
	v_add_f64 v[118:119], v[30:31], -v[74:75]
	v_add_f64 v[2:3], v[18:19], v[2:3]
	s_mov_b32 s7, 0x3fdc86fa
	s_mov_b32 s38, 0xeb564b22
	v_add_f64 v[0:1], v[4:5], v[0:1]
	v_fma_f64 v[4:5], v[148:149], s[14:15], -v[96:97]
	v_add_f64 v[152:153], v[28:29], v[72:73]
	v_add_f64 v[116:117], v[28:29], -v[72:73]
	v_mul_f64 v[98:99], v[118:119], s[28:29]
	s_mov_b32 s16, 0x3259b75e
	s_mov_b32 s39, 0xbfefdd0d
	v_add_f64 v[2:3], v[4:5], v[2:3]
	v_add_f64 v[154:155], v[30:31], v[74:75]
	v_mul_f64 v[100:101], v[116:117], s[28:29]
	v_fma_f64 v[4:5], s[6:7], v[152:153], v[98:99]
	v_add_f64 v[220:221], v[34:35], -v[70:71]
	s_mov_b32 s17, 0x3fb79ee6
	v_add_f64 v[0:1], v[4:5], v[0:1]
	v_fma_f64 v[4:5], v[154:155], s[6:7], -v[100:101]
	s_mov_b32 s44, 0x923c349f
	v_add_f64 v[158:159], v[32:33], v[68:69]
	v_add_f64 v[218:219], v[32:33], -v[68:69]
	v_mul_f64 v[102:103], v[220:221], s[38:39]
	v_add_f64 v[2:3], v[4:5], v[2:3]
	s_mov_b32 s20, 0xc61f0d01
	s_mov_b32 s45, 0x3feec746
	v_add_f64 v[160:161], v[34:35], v[70:71]
	v_mul_f64 v[104:105], v[218:219], s[38:39]
	v_fma_f64 v[4:5], s[16:17], v[158:159], v[102:103]
	v_add_f64 v[228:229], v[38:39], -v[66:67]
	s_mov_b32 s41, 0xbfeec746
	s_mov_b32 s40, s44
	;; [unrolled: 1-line block ×4, first 2 shown]
	v_add_f64 v[0:1], v[4:5], v[0:1]
	v_fma_f64 v[4:5], v[160:161], s[16:17], -v[104:105]
	v_add_f64 v[164:165], v[36:37], v[64:65]
	v_add_f64 v[222:223], v[36:37], -v[64:65]
	v_mul_f64 v[106:107], v[228:229], s[40:41]
	s_mov_b32 s18, 0x6ed5f1bb
	s_mov_b32 s35, 0xbfe9895b
	v_add_f64 v[2:3], v[4:5], v[2:3]
	v_add_f64 v[166:167], v[38:39], v[66:67]
	v_mul_f64 v[196:197], v[222:223], s[40:41]
	v_fma_f64 v[4:5], s[20:21], v[164:165], v[106:107]
	v_add_f64 v[242:243], v[42:43], -v[62:63]
	s_mov_b32 s19, 0xbfe348c8
	v_add_f64 v[0:1], v[4:5], v[0:1]
	v_fma_f64 v[4:5], v[166:167], s[20:21], -v[196:197]
	s_mov_b32 s42, 0x4363dd80
	v_add_f64 v[174:175], v[40:41], v[60:61]
	v_add_f64 v[234:235], v[40:41], -v[60:61]
	v_mul_f64 v[198:199], v[242:243], s[34:35]
	v_add_f64 v[2:3], v[4:5], v[2:3]
	s_mov_b32 s22, 0x910ea3b9
	s_mov_b32 s43, 0x3fe0d888
	v_add_f64 v[176:177], v[42:43], v[62:63]
	v_mul_f64 v[200:201], v[234:235], s[34:35]
	v_fma_f64 v[4:5], s[18:19], v[174:175], v[198:199]
	s_mov_b32 s47, 0xbfe0d888
	s_mov_b32 s46, s42
	v_add_f64 v[120:121], v[46:47], -v[58:59]
	s_mov_b32 s36, 0xacd6c6b4
	s_mov_b32 s23, 0xbfeb34fa
	v_add_f64 v[0:1], v[4:5], v[0:1]
	v_fma_f64 v[4:5], v[176:177], s[18:19], -v[200:201]
	v_add_f64 v[182:183], v[44:45], v[56:57]
	v_add_f64 v[250:251], v[44:45], -v[56:57]
	v_mul_f64 v[204:205], v[120:121], s[46:47]
	s_mov_b32 s10, 0x7faef3
	s_mov_b32 s37, 0xbfc7851a
	v_add_f64 v[2:3], v[4:5], v[2:3]
	v_add_f64 v[184:185], v[46:47], v[58:59]
	v_mul_f64 v[206:207], v[250:251], s[46:47]
	v_fma_f64 v[4:5], s[22:23], v[182:183], v[204:205]
	v_add_f64 v[130:131], v[50:51], -v[54:55]
	s_mov_b32 s11, 0xbfef7484
	v_add_f64 v[0:1], v[4:5], v[0:1]
	v_fma_f64 v[4:5], v[184:185], s[22:23], -v[206:207]
	v_add_f64 v[192:193], v[48:49], v[52:53]
	v_mul_f64 v[208:209], v[130:131], s[36:37]
	v_add_f64 v[128:129], v[48:49], -v[52:53]
	v_add_f64 v[2:3], v[4:5], v[2:3]
	v_fma_f64 v[4:5], s[10:11], v[192:193], v[208:209]
	v_add_f64 v[202:203], v[50:51], v[54:55]
	v_mul_f64 v[210:211], v[128:129], s[36:37]
	v_add_f64 v[0:1], v[4:5], v[0:1]
	v_fma_f64 v[4:5], v[202:203], s[10:11], -v[210:211]
	v_add_f64 v[2:3], v[4:5], v[2:3]
	v_accvgpr_write_b32 a5, v3
	v_accvgpr_write_b32 a4, v2
	;; [unrolled: 1-line block ×4, first 2 shown]
	v_mul_f64 v[0:1], v[108:109], s[30:31]
	v_fma_f64 v[4:5], s[14:15], v[136:137], v[0:1]
	v_mul_f64 v[212:213], v[110:111], s[38:39]
	v_add_f64 v[4:5], v[16:17], v[4:5]
	v_fma_f64 v[6:7], s[16:17], v[144:145], v[212:213]
	v_mul_f64 v[224:225], v[112:113], s[30:31]
	v_mul_f64 v[2:3], v[114:115], s[38:39]
	v_add_f64 v[4:5], v[6:7], v[4:5]
	v_fma_f64 v[6:7], v[138:139], s[14:15], -v[224:225]
	v_accvgpr_write_b32 a9, v3
	v_add_f64 v[6:7], v[18:19], v[6:7]
	v_accvgpr_write_b32 a8, v2
	v_fma_f64 v[8:9], v[148:149], s[16:17], -v[2:3]
	v_mul_f64 v[214:215], v[118:119], s[34:35]
	v_mul_f64 v[2:3], v[116:117], s[34:35]
	v_add_f64 v[6:7], v[8:9], v[6:7]
	v_fma_f64 v[8:9], s[18:19], v[152:153], v[214:215]
	v_accvgpr_write_b32 a13, v3
	v_add_f64 v[4:5], v[8:9], v[4:5]
	v_accvgpr_write_b32 a12, v2
	v_fma_f64 v[8:9], v[154:155], s[18:19], -v[2:3]
	v_mul_f64 v[216:217], v[220:221], s[36:37]
	v_mul_f64 v[2:3], v[218:219], s[36:37]
	v_add_f64 v[6:7], v[8:9], v[6:7]
	v_fma_f64 v[8:9], s[10:11], v[158:159], v[216:217]
	v_accvgpr_write_b32 a19, v3
	v_add_f64 v[4:5], v[8:9], v[4:5]
	v_accvgpr_write_b32 a18, v2
	v_fma_f64 v[8:9], v[160:161], s[10:11], -v[2:3]
	v_mul_f64 v[2:3], v[228:229], s[42:43]
	v_accvgpr_write_b32 a11, v3
	v_add_f64 v[6:7], v[8:9], v[6:7]
	v_accvgpr_write_b32 a10, v2
	v_fma_f64 v[8:9], s[22:23], v[164:165], v[2:3]
	v_mul_f64 v[2:3], v[222:223], s[42:43]
	v_accvgpr_write_b32 a23, v3
	v_add_f64 v[4:5], v[8:9], v[4:5]
	v_accvgpr_write_b32 a22, v2
	v_fma_f64 v[8:9], v[166:167], s[22:23], -v[2:3]
	v_mul_f64 v[2:3], v[242:243], s[44:45]
	v_accvgpr_write_b32 a15, v3
	v_add_f64 v[6:7], v[8:9], v[6:7]
	v_accvgpr_write_b32 a14, v2
	v_fma_f64 v[8:9], s[20:21], v[174:175], v[2:3]
	v_mul_f64 v[2:3], v[234:235], s[44:45]
	v_accvgpr_write_b32 a25, v3
	s_mov_b32 s53, 0x3feca52d
	s_mov_b32 s52, s28
	v_add_f64 v[4:5], v[8:9], v[4:5]
	v_accvgpr_write_b32 a24, v2
	v_fma_f64 v[8:9], v[176:177], s[20:21], -v[2:3]
	v_mul_f64 v[2:3], v[120:121], s[52:53]
	v_accvgpr_write_b32 a17, v3
	v_add_f64 v[6:7], v[8:9], v[6:7]
	v_accvgpr_write_b32 a16, v2
	v_fma_f64 v[8:9], s[6:7], v[182:183], v[2:3]
	v_mul_f64 v[2:3], v[250:251], s[52:53]
	v_accvgpr_write_b32 a27, v3
	s_mov_b32 s51, 0x3fd71e95
	s_mov_b32 s50, s24
	v_add_f64 v[4:5], v[8:9], v[4:5]
	v_accvgpr_write_b32 a26, v2
	v_fma_f64 v[8:9], v[184:185], s[6:7], -v[2:3]
	v_mul_f64 v[2:3], v[130:131], s[50:51]
	v_add_f64 v[6:7], v[8:9], v[6:7]
	v_accvgpr_write_b32 a21, v3
	v_fma_f64 v[8:9], s[0:1], v[192:193], v[2:3]
	v_accvgpr_write_b32 a20, v2
	v_add_f64 v[2:3], v[8:9], v[4:5]
	v_mul_f64 v[4:5], v[128:129], s[50:51]
	v_accvgpr_write_b32 a29, v5
	v_fma_f64 v[8:9], v[202:203], s[0:1], -v[4:5]
	v_accvgpr_write_b32 a28, v4
	v_add_f64 v[4:5], v[8:9], v[6:7]
	v_mul_f64 v[6:7], v[108:109], s[28:29]
	v_fma_f64 v[8:9], s[6:7], v[136:137], v[6:7]
	v_mul_f64 v[230:231], v[110:111], s[34:35]
	v_add_f64 v[8:9], v[16:17], v[8:9]
	v_fma_f64 v[10:11], s[18:19], v[144:145], v[230:231]
	v_mul_f64 v[244:245], v[112:113], s[28:29]
	v_add_f64 v[8:9], v[10:11], v[8:9]
	v_fma_f64 v[10:11], v[138:139], s[6:7], -v[244:245]
	v_mul_f64 v[246:247], v[114:115], s[34:35]
	s_mov_b32 s55, 0x3fc7851a
	s_mov_b32 s54, s36
	v_add_f64 v[10:11], v[18:19], v[10:11]
	v_fma_f64 v[12:13], v[148:149], s[18:19], -v[246:247]
	v_mul_f64 v[226:227], v[118:119], s[54:55]
	v_add_f64 v[10:11], v[12:13], v[10:11]
	v_fma_f64 v[12:13], s[10:11], v[152:153], v[226:227]
	v_mul_f64 v[252:253], v[116:117], s[54:55]
	v_add_f64 v[8:9], v[12:13], v[8:9]
	v_fma_f64 v[12:13], v[154:155], s[10:11], -v[252:253]
	v_mul_f64 v[232:233], v[220:221], s[44:45]
	v_add_f64 v[10:11], v[12:13], v[10:11]
	v_fma_f64 v[12:13], s[20:21], v[158:159], v[232:233]
	v_mul_f64 v[254:255], v[218:219], s[44:45]
	s_mov_b32 s49, 0x3fe58eea
	s_mov_b32 s48, s30
	v_add_f64 v[8:9], v[12:13], v[8:9]
	v_fma_f64 v[12:13], v[160:161], s[20:21], -v[254:255]
	v_mul_f64 v[236:237], v[228:229], s[48:49]
	v_add_f64 v[10:11], v[12:13], v[10:11]
	v_fma_f64 v[12:13], s[14:15], v[164:165], v[236:237]
	v_mul_f64 v[122:123], v[222:223], s[48:49]
	v_add_f64 v[8:9], v[12:13], v[8:9]
	v_fma_f64 v[12:13], v[166:167], s[14:15], -v[122:123]
	v_mul_f64 v[238:239], v[242:243], s[24:25]
	v_add_f64 v[10:11], v[12:13], v[10:11]
	v_fma_f64 v[12:13], s[0:1], v[174:175], v[238:239]
	v_mul_f64 v[124:125], v[234:235], s[24:25]
	;; [unrolled: 6-line block ×3, first 2 shown]
	v_add_f64 v[8:9], v[12:13], v[8:9]
	v_fma_f64 v[12:13], v[184:185], s[16:17], -v[126:127]
	v_mul_f64 v[248:249], v[130:131], s[46:47]
	v_accvgpr_write_b32 a31, v7
	v_add_f64 v[10:11], v[12:13], v[10:11]
	v_fma_f64 v[12:13], s[22:23], v[192:193], v[248:249]
	v_mul_f64 v[132:133], v[128:129], s[46:47]
	v_accvgpr_write_b32 a30, v6
	v_add_f64 v[6:7], v[12:13], v[8:9]
	v_fma_f64 v[12:13], v[202:203], s[22:23], -v[132:133]
	v_mul_f64 v[134:135], v[108:109], s[38:39]
	v_add_f64 v[8:9], v[12:13], v[10:11]
	v_fma_f64 v[12:13], s[16:17], v[136:137], v[134:135]
	v_mul_f64 v[140:141], v[110:111], s[36:37]
	v_add_f64 v[12:13], v[16:17], v[12:13]
	v_fma_f64 v[14:15], s[10:11], v[144:145], v[140:141]
	v_mul_f64 v[150:151], v[112:113], s[38:39]
	v_add_f64 v[12:13], v[14:15], v[12:13]
	v_fma_f64 v[14:15], v[138:139], s[16:17], -v[150:151]
	v_mul_f64 v[162:163], v[114:115], s[36:37]
	v_add_f64 v[14:15], v[18:19], v[14:15]
	v_fma_f64 v[84:85], v[148:149], s[10:11], -v[162:163]
	v_mul_f64 v[142:143], v[118:119], s[44:45]
	v_add_f64 v[14:15], v[84:85], v[14:15]
	v_fma_f64 v[84:85], s[20:21], v[152:153], v[142:143]
	v_mul_f64 v[86:87], v[116:117], s[44:45]
	v_add_f64 v[12:13], v[84:85], v[12:13]
	v_fma_f64 v[84:85], v[154:155], s[20:21], -v[86:87]
	v_mul_f64 v[146:147], v[220:221], s[50:51]
	v_add_f64 v[14:15], v[84:85], v[14:15]
	v_fma_f64 v[84:85], s[0:1], v[158:159], v[146:147]
	;; [unrolled: 6-line block ×3, first 2 shown]
	v_mul_f64 v[180:181], v[222:223], s[28:29]
	v_add_f64 v[12:13], v[84:85], v[12:13]
	v_fma_f64 v[84:85], v[166:167], s[6:7], -v[180:181]
	v_add_f64 v[14:15], v[84:85], v[14:15]
	v_mul_f64 v[84:85], v[242:243], s[46:47]
	v_fma_f64 v[88:89], s[22:23], v[174:175], v[84:85]
	v_mul_f64 v[186:187], v[234:235], s[46:47]
	s_mov_b32 s57, 0x3fe9895b
	s_mov_b32 s56, s34
	v_add_f64 v[12:13], v[88:89], v[12:13]
	v_fma_f64 v[88:89], v[176:177], s[22:23], -v[186:187]
	v_mul_f64 v[170:171], v[120:121], s[56:57]
	v_add_f64 v[14:15], v[88:89], v[14:15]
	v_fma_f64 v[88:89], s[18:19], v[182:183], v[170:171]
	v_mul_f64 v[188:189], v[250:251], s[56:57]
	v_add_f64 v[12:13], v[88:89], v[12:13]
	v_fma_f64 v[88:89], v[184:185], s[18:19], -v[188:189]
	v_mul_f64 v[178:179], v[130:131], s[48:49]
	v_add_f64 v[14:15], v[88:89], v[14:15]
	v_fma_f64 v[88:89], s[14:15], v[192:193], v[178:179]
	v_mul_f64 v[190:191], v[128:129], s[48:49]
	v_add_f64 v[10:11], v[88:89], v[12:13]
	v_fma_f64 v[88:89], v[202:203], s[14:15], -v[190:191]
	v_add_f64 v[12:13], v[88:89], v[14:15]
	s_barrier
	s_mov_b64 s[26:27], exec
	s_and_b64 s[58:59], s[26:27], vcc
	v_accvgpr_write_b32 a0, v194
	s_mov_b64 exec, s[58:59]
	s_cbranch_execz .LBB0_7
; %bb.6:
	v_mul_f64 v[88:89], v[138:139], s[10:11]
	v_accvgpr_write_b32 a36, v90
	v_accvgpr_write_b32 a44, v92
	;; [unrolled: 1-line block ×3, first 2 shown]
	v_fma_f64 v[90:91], s[54:55], v[112:113], v[88:89]
	v_accvgpr_write_b32 a45, v93
	v_mul_f64 v[92:93], v[148:149], s[0:1]
	v_accvgpr_write_b32 a38, v94
	v_add_f64 v[90:91], v[18:19], v[90:91]
	v_accvgpr_write_b32 a39, v95
	v_fma_f64 v[94:95], s[24:25], v[114:115], v[92:93]
	v_add_f64 v[90:91], v[94:95], v[90:91]
	v_mul_f64 v[94:95], v[154:155], s[22:23]
	v_accvgpr_write_b32 a46, v96
	v_accvgpr_write_b32 a47, v97
	v_fma_f64 v[96:97], s[42:43], v[116:117], v[94:95]
	v_add_f64 v[90:91], v[96:97], v[90:91]
	v_mul_f64 v[96:97], v[160:161], s[14:15]
	v_accvgpr_write_b32 a40, v98
	;; [unrolled: 5-line block ×6, first 2 shown]
	v_accvgpr_write_b32 a53, v107
	v_fma_f64 v[106:107], s[10:11], v[136:137], v[104:105]
	v_accvgpr_write_b32 a6, v195
	v_mul_f64 v[194:195], v[110:111], s[50:51]
	v_accvgpr_write_b32 a58, v196
	v_add_f64 v[106:107], v[16:17], v[106:107]
	v_accvgpr_write_b32 a59, v197
	v_fma_f64 v[196:197], s[0:1], v[144:145], v[194:195]
	v_add_f64 v[106:107], v[196:197], v[106:107]
	v_mul_f64 v[196:197], v[118:119], s[46:47]
	v_accvgpr_write_b32 a54, v198
	v_accvgpr_write_b32 a55, v199
	v_fma_f64 v[198:199], s[22:23], v[152:153], v[196:197]
	v_add_f64 v[106:107], v[198:199], v[106:107]
	v_mul_f64 v[198:199], v[220:221], s[48:49]
	v_accvgpr_write_b32 a62, v200
	;; [unrolled: 5-line block ×6, first 2 shown]
	v_accvgpr_write_b32 a69, v211
	v_fma_f64 v[210:211], s[38:39], v[128:129], v[208:209]
	v_accvgpr_write_b32 a76, v232
	s_mov_b32 s59, 0x3fefdd0d
	s_mov_b32 s58, s38
	v_fmac_f64_e32 v[88:89], s[36:37], v[112:113]
	v_accvgpr_write_b32 a77, v233
	v_add_f64 v[232:233], v[210:211], v[90:91]
	v_mul_f64 v[210:211], v[130:131], s[58:59]
	v_fmac_f64_e32 v[92:93], s[50:51], v[114:115]
	v_add_f64 v[88:89], v[18:19], v[88:89]
	v_fma_f64 v[90:91], s[16:17], v[192:193], v[210:211]
	v_accvgpr_write_b32 a74, v230
	v_add_f64 v[88:89], v[92:93], v[88:89]
	v_fma_f64 v[92:93], v[136:137], s[10:11], -v[104:105]
	v_accvgpr_write_b32 a75, v231
	v_add_f64 v[230:231], v[90:91], v[106:107]
	v_fmac_f64_e32 v[94:95], s[46:47], v[116:117]
	v_fma_f64 v[90:91], v[144:145], s[0:1], -v[194:195]
	v_add_f64 v[92:93], v[16:17], v[92:93]
	v_add_f64 v[88:89], v[94:95], v[88:89]
	v_fmac_f64_e32 v[96:97], s[48:49], v[218:219]
	v_add_f64 v[90:91], v[90:91], v[92:93]
	v_fma_f64 v[92:93], v[152:153], s[22:23], -v[196:197]
	v_add_f64 v[88:89], v[96:97], v[88:89]
	v_fmac_f64_e32 v[98:99], s[34:35], v[222:223]
	v_add_f64 v[90:91], v[92:93], v[90:91]
	v_fma_f64 v[92:93], v[158:159], s[14:15], -v[198:199]
	;; [unrolled: 4-line block ×4, first 2 shown]
	v_accvgpr_write_b32 a32, v230
	v_add_f64 v[88:89], v[102:103], v[88:89]
	v_add_f64 v[90:91], v[92:93], v[90:91]
	v_fma_f64 v[92:93], v[182:183], s[20:21], -v[206:207]
	v_fmac_f64_e32 v[208:209], s[58:59], v[128:129]
	v_accvgpr_write_b32 a33, v231
	v_accvgpr_write_b32 a34, v232
	;; [unrolled: 1-line block ×3, first 2 shown]
	v_add_f64 v[92:93], v[92:93], v[90:91]
	v_add_f64 v[232:233], v[208:209], v[88:89]
	v_fma_f64 v[88:89], v[192:193], s[16:17], -v[210:211]
	v_mul_f64 v[96:97], v[138:139], s[22:23]
	v_add_f64 v[230:231], v[88:89], v[92:93]
	v_fma_f64 v[92:93], s[42:43], v[112:113], v[96:97]
	v_mul_f64 v[98:99], v[148:149], s[6:7]
	v_add_f64 v[92:93], v[18:19], v[92:93]
	v_fma_f64 v[94:95], s[28:29], v[114:115], v[98:99]
	;; [unrolled: 3-line block ×9, first 2 shown]
	v_add_f64 v[94:95], v[200:201], v[94:95]
	v_mul_f64 v[200:201], v[118:119], s[38:39]
	v_fma_f64 v[204:205], s[16:17], v[152:153], v[200:201]
	v_add_f64 v[94:95], v[204:205], v[94:95]
	v_mul_f64 v[204:205], v[220:221], s[56:57]
	v_fma_f64 v[206:207], s[18:19], v[158:159], v[204:205]
	;; [unrolled: 3-line block ×5, first 2 shown]
	v_mul_f64 v[90:91], v[202:203], s[20:21]
	v_accvgpr_write_b32 a78, v212
	v_add_f64 v[88:89], v[88:89], v[94:95]
	v_fma_f64 v[94:95], s[44:45], v[128:129], v[90:91]
	v_accvgpr_write_b32 a79, v213
	v_mul_f64 v[212:213], v[130:131], s[40:41]
	v_add_f64 v[94:95], v[94:95], v[92:93]
	v_fma_f64 v[92:93], s[20:21], v[192:193], v[212:213]
	v_fmac_f64_e32 v[96:97], s[46:47], v[112:113]
	v_add_f64 v[92:93], v[92:93], v[88:89]
	v_fmac_f64_e32 v[98:99], s[52:53], v[114:115]
	v_add_f64 v[88:89], v[18:19], v[96:97]
	v_add_f64 v[88:89], v[98:99], v[88:89]
	v_fma_f64 v[98:99], v[136:137], s[22:23], -v[196:197]
	v_fmac_f64_e32 v[100:101], s[38:39], v[116:117]
	v_fma_f64 v[96:97], v[144:145], s[6:7], -v[198:199]
	v_add_f64 v[98:99], v[16:17], v[98:99]
	v_add_f64 v[88:89], v[100:101], v[88:89]
	v_fmac_f64_e32 v[102:103], s[56:57], v[218:219]
	v_add_f64 v[96:97], v[96:97], v[98:99]
	v_fma_f64 v[98:99], v[152:153], s[16:17], -v[200:201]
	v_add_f64 v[88:89], v[102:103], v[88:89]
	v_fmac_f64_e32 v[104:105], s[24:25], v[222:223]
	v_add_f64 v[96:97], v[98:99], v[96:97]
	v_fma_f64 v[98:99], v[158:159], s[18:19], -v[204:205]
	;; [unrolled: 4-line block ×4, first 2 shown]
	v_add_f64 v[88:89], v[194:195], v[88:89]
	v_add_f64 v[96:97], v[98:99], v[96:97]
	v_fma_f64 v[98:99], v[182:183], s[14:15], -v[210:211]
	v_fmac_f64_e32 v[90:91], s[40:41], v[128:129]
	v_add_f64 v[96:97], v[98:99], v[96:97]
	v_add_f64 v[98:99], v[90:91], v[88:89]
	v_fma_f64 v[88:89], v[192:193], s[20:21], -v[212:213]
	v_add_f64 v[96:97], v[88:89], v[96:97]
	v_mul_f64 v[88:89], v[138:139], s[18:19]
	v_fma_f64 v[90:91], s[56:57], v[112:113], v[88:89]
	v_mul_f64 v[104:105], v[148:149], s[20:21]
	v_add_f64 v[90:91], v[18:19], v[90:91]
	v_fma_f64 v[100:101], s[40:41], v[114:115], v[104:105]
	v_mul_f64 v[106:107], v[154:155], s[0:1]
	v_add_f64 v[90:91], v[100:101], v[90:91]
	;; [unrolled: 3-line block ×10, first 2 shown]
	v_fma_f64 v[102:103], s[22:23], v[158:159], v[210:211]
	v_mul_f64 v[212:213], v[228:229], s[58:59]
	v_accvgpr_write_b32 a80, v214
	v_add_f64 v[100:101], v[102:103], v[100:101]
	v_fma_f64 v[102:103], s[16:17], v[164:165], v[212:213]
	v_accvgpr_write_b32 a81, v215
	v_mul_f64 v[214:215], v[242:243], s[30:31]
	v_accvgpr_write_b32 a65, v1
	v_add_f64 v[100:101], v[102:103], v[100:101]
	v_fma_f64 v[102:103], s[14:15], v[174:175], v[214:215]
	v_mov_b64_e32 v[14:15], v[216:217]
	v_mul_f64 v[216:217], v[120:121], s[36:37]
	v_accvgpr_write_b32 a64, v0
	v_add_f64 v[100:101], v[102:103], v[100:101]
	v_fma_f64 v[102:103], s[10:11], v[182:183], v[216:217]
	v_mov_b64_e32 v[0:1], v[224:225]
	v_mul_f64 v[224:225], v[202:203], s[6:7]
	v_add_f64 v[100:101], v[102:103], v[100:101]
	v_fma_f64 v[102:103], s[28:29], v[128:129], v[224:225]
	v_accvgpr_write_b32 a70, v92
	v_add_f64 v[102:103], v[102:103], v[90:91]
	v_mul_f64 v[90:91], v[130:131], s[52:53]
	v_fmac_f64_e32 v[88:89], s[34:35], v[112:113]
	v_accvgpr_write_b32 a71, v93
	v_accvgpr_write_b32 a72, v94
	;; [unrolled: 1-line block ×3, first 2 shown]
	v_fma_f64 v[92:93], s[6:7], v[192:193], v[90:91]
	v_fmac_f64_e32 v[104:105], s[44:45], v[114:115]
	v_add_f64 v[88:89], v[18:19], v[88:89]
	v_fma_f64 v[94:95], v[136:137], s[18:19], -v[204:205]
	v_add_f64 v[100:101], v[92:93], v[100:101]
	v_add_f64 v[88:89], v[104:105], v[88:89]
	v_fmac_f64_e32 v[106:107], s[24:25], v[116:117]
	v_fma_f64 v[92:93], v[144:145], s[20:21], -v[206:207]
	v_add_f64 v[94:95], v[16:17], v[94:95]
	v_add_f64 v[88:89], v[106:107], v[88:89]
	v_fmac_f64_e32 v[194:195], s[46:47], v[218:219]
	v_add_f64 v[92:93], v[92:93], v[94:95]
	v_fma_f64 v[94:95], v[152:153], s[0:1], -v[208:209]
	v_add_f64 v[88:89], v[194:195], v[88:89]
	v_fmac_f64_e32 v[196:197], s[58:59], v[222:223]
	v_add_f64 v[92:93], v[94:95], v[92:93]
	v_fma_f64 v[94:95], v[158:159], s[22:23], -v[210:211]
	;; [unrolled: 4-line block ×4, first 2 shown]
	v_add_f64 v[88:89], v[200:201], v[88:89]
	v_add_f64 v[92:93], v[94:95], v[92:93]
	v_fma_f64 v[94:95], v[182:183], s[10:11], -v[216:217]
	v_fmac_f64_e32 v[224:225], s[52:53], v[128:129]
	v_add_f64 v[92:93], v[94:95], v[92:93]
	v_add_f64 v[106:107], v[224:225], v[88:89]
	v_fma_f64 v[88:89], v[192:193], s[6:7], -v[90:91]
	v_add_f64 v[104:105], v[88:89], v[92:93]
	v_mul_f64 v[88:89], v[138:139], s[20:21]
	v_fma_f64 v[90:91], s[44:45], v[112:113], v[88:89]
	v_mul_f64 v[92:93], v[148:149], s[22:23]
	v_add_f64 v[90:91], v[18:19], v[90:91]
	v_fma_f64 v[94:95], s[46:47], v[114:115], v[92:93]
	v_add_f64 v[90:91], v[94:95], v[90:91]
	v_mul_f64 v[94:95], v[154:155], s[14:15]
	v_fma_f64 v[194:195], s[30:31], v[116:117], v[94:95]
	v_add_f64 v[90:91], v[194:195], v[90:91]
	v_mul_f64 v[194:195], v[160:161], s[6:7]
	;; [unrolled: 3-line block ×4, first 2 shown]
	v_fma_f64 v[200:201], s[38:39], v[234:235], v[198:199]
	v_fmac_f64_e32 v[88:89], s[40:41], v[112:113]
	v_add_f64 v[90:91], v[200:201], v[90:91]
	v_mul_f64 v[200:201], v[184:185], s[0:1]
	v_fmac_f64_e32 v[92:93], s[42:43], v[114:115]
	v_add_f64 v[88:89], v[18:19], v[88:89]
	v_fma_f64 v[204:205], s[50:51], v[250:251], v[200:201]
	v_mul_f64 v[206:207], v[108:109], s[40:41]
	v_fmac_f64_e32 v[94:95], s[48:49], v[116:117]
	v_add_f64 v[88:89], v[92:93], v[88:89]
	v_add_f64 v[90:91], v[204:205], v[90:91]
	v_mul_f64 v[204:205], v[110:111], s[42:43]
	v_fma_f64 v[108:109], s[20:21], v[136:137], v[206:207]
	v_add_f64 v[88:89], v[94:95], v[88:89]
	v_fma_f64 v[94:95], v[136:137], s[20:21], -v[206:207]
	v_add_f64 v[108:109], v[16:17], v[108:109]
	v_fma_f64 v[110:111], s[22:23], v[144:145], v[204:205]
	v_mul_f64 v[118:119], v[118:119], s[48:49]
	v_fma_f64 v[92:93], v[144:145], s[22:23], -v[204:205]
	v_add_f64 v[94:95], v[16:17], v[94:95]
	v_add_f64 v[108:109], v[110:111], v[108:109]
	v_fma_f64 v[110:111], s[14:15], v[152:153], v[118:119]
	v_mul_f64 v[208:209], v[220:221], s[28:29]
	v_add_f64 v[92:93], v[92:93], v[94:95]
	v_fma_f64 v[94:95], v[152:153], s[14:15], -v[118:119]
	v_add_f64 v[108:109], v[110:111], v[108:109]
	v_fma_f64 v[110:111], s[6:7], v[158:159], v[208:209]
	v_mul_f64 v[210:211], v[228:229], s[36:37]
	v_add_f64 v[92:93], v[94:95], v[92:93]
	v_fma_f64 v[94:95], v[158:159], s[6:7], -v[208:209]
	;; [unrolled: 5-line block ×4, first 2 shown]
	v_add_f64 v[108:109], v[110:111], v[108:109]
	v_fma_f64 v[110:111], s[0:1], v[182:183], v[120:121]
	v_add_f64 v[92:93], v[94:95], v[92:93]
	v_fma_f64 v[94:95], v[182:183], s[0:1], -v[120:121]
	v_mul_f64 v[118:119], v[154:155], s[20:21]
	v_mul_f64 v[120:121], v[138:139], s[16:17]
	v_fmac_f64_e32 v[194:195], s[28:29], v[218:219]
	v_add_f64 v[86:87], v[86:87], v[118:119]
	v_mul_f64 v[118:119], v[148:149], s[10:11]
	v_add_f64 v[120:121], v[150:151], v[120:121]
	v_mul_f64 v[214:215], v[202:203], s[18:19]
	v_fmac_f64_e32 v[196:197], s[36:37], v[222:223]
	v_add_f64 v[88:89], v[194:195], v[88:89]
	v_add_f64 v[118:119], v[162:163], v[118:119]
	;; [unrolled: 1-line block ×4, first 2 shown]
	v_fma_f64 v[110:111], s[56:57], v[128:129], v[214:215]
	v_fmac_f64_e32 v[214:215], s[34:35], v[128:129]
	v_fmac_f64_e32 v[198:199], s[58:59], v[234:235]
	v_add_f64 v[88:89], v[196:197], v[88:89]
	v_mul_f64 v[116:117], v[160:161], s[0:1]
	v_add_f64 v[118:119], v[118:119], v[120:121]
	v_mul_f64 v[128:129], v[136:137], s[16:17]
	v_fmac_f64_e32 v[200:201], s[24:25], v[250:251]
	v_add_f64 v[88:89], v[198:199], v[88:89]
	v_add_f64 v[92:93], v[94:95], v[92:93]
	v_mul_f64 v[94:95], v[166:167], s[6:7]
	v_add_f64 v[116:117], v[172:173], v[116:117]
	v_add_f64 v[86:87], v[86:87], v[118:119]
	v_mul_f64 v[120:121], v[144:145], s[10:11]
	v_add_f64 v[128:129], v[128:129], -v[134:135]
	v_add_f64 v[110:111], v[110:111], v[90:91]
	v_mul_f64 v[90:91], v[130:131], s[34:35]
	v_add_f64 v[88:89], v[200:201], v[88:89]
	v_add_f64 v[94:95], v[180:181], v[94:95]
	;; [unrolled: 1-line block ×3, first 2 shown]
	v_mul_f64 v[118:119], v[152:153], s[20:21]
	v_add_f64 v[120:121], v[120:121], -v[140:141]
	v_add_f64 v[128:129], v[16:17], v[128:129]
	v_add_f64 v[114:115], v[214:215], v[88:89]
	v_fma_f64 v[88:89], v[192:193], s[18:19], -v[90:91]
	v_add_f64 v[86:87], v[94:95], v[86:87]
	v_mul_f64 v[94:95], v[174:175], s[22:23]
	v_mul_f64 v[116:117], v[158:159], s[0:1]
	v_add_f64 v[118:119], v[118:119], -v[142:143]
	v_add_f64 v[120:121], v[120:121], v[128:129]
	v_add_f64 v[112:113], v[88:89], v[92:93]
	v_mul_f64 v[92:93], v[176:177], s[22:23]
	v_add_f64 v[84:85], v[94:95], -v[84:85]
	v_mul_f64 v[94:95], v[164:165], s[6:7]
	v_add_f64 v[116:117], v[116:117], -v[146:147]
	v_add_f64 v[118:119], v[118:119], v[120:121]
	v_fma_f64 v[130:131], s[18:19], v[192:193], v[90:91]
	v_mul_f64 v[90:91], v[184:185], s[18:19]
	v_add_f64 v[92:93], v[186:187], v[92:93]
	v_add_f64 v[94:95], v[94:95], -v[156:157]
	v_add_f64 v[116:117], v[116:117], v[118:119]
	v_add_f64 v[90:91], v[188:189], v[90:91]
	;; [unrolled: 1-line block ×3, first 2 shown]
	v_mul_f64 v[92:93], v[182:183], s[18:19]
	v_add_f64 v[94:95], v[94:95], v[116:117]
	v_add_f64 v[86:87], v[90:91], v[86:87]
	v_mul_f64 v[90:91], v[192:193], s[14:15]
	v_add_f64 v[92:93], v[92:93], -v[170:171]
	v_add_f64 v[84:85], v[84:85], v[94:95]
	v_add_f64 v[90:91], v[90:91], -v[178:179]
	v_add_f64 v[84:85], v[92:93], v[84:85]
	v_add_f64 v[116:117], v[90:91], v[84:85]
	v_mul_f64 v[90:91], v[166:167], s[14:15]
	v_add_f64 v[90:91], v[122:123], v[90:91]
	v_mul_f64 v[122:123], v[138:139], s[6:7]
	v_mul_f64 v[120:121], v[148:149], s[18:19]
	v_add_f64 v[122:123], v[244:245], v[122:123]
	v_mul_f64 v[94:95], v[154:155], s[10:11]
	v_add_f64 v[120:121], v[246:247], v[120:121]
	v_add_f64 v[122:123], v[18:19], v[122:123]
	v_mul_f64 v[88:89], v[202:203], s[14:15]
	v_mul_f64 v[92:93], v[160:161], s[20:21]
	v_add_f64 v[94:95], v[252:253], v[94:95]
	v_add_f64 v[120:121], v[120:121], v[122:123]
	;; [unrolled: 1-line block ×6, first 2 shown]
	v_mul_f64 v[88:89], v[176:177], s[0:1]
	v_add_f64 v[92:93], v[92:93], v[94:95]
	v_accvgpr_read_b32 v143, a77
	v_mul_f64 v[84:85], v[202:203], s[22:23]
	v_add_f64 v[88:89], v[124:125], v[88:89]
	v_add_f64 v[90:91], v[90:91], v[92:93]
	v_mul_f64 v[140:141], v[158:159], s[20:21]
	v_accvgpr_read_b32 v142, a76
	v_add_f64 v[108:109], v[130:131], v[108:109]
	v_add_f64 v[84:85], v[132:133], v[84:85]
	v_mul_f64 v[94:95], v[144:145], s[14:15]
	v_mul_f64 v[92:93], v[148:149], s[14:15]
	v_add_f64 v[88:89], v[88:89], v[90:91]
	v_mul_f64 v[90:91], v[144:145], s[16:17]
	v_mul_f64 v[130:131], v[148:149], s[16:17]
	;; [unrolled: 1-line block ×3, first 2 shown]
	v_add_f64 v[140:141], v[140:141], -v[142:143]
	v_mul_f64 v[142:143], v[152:153], s[10:11]
	v_mul_f64 v[144:145], v[152:153], s[6:7]
	;; [unrolled: 1-line block ×3, first 2 shown]
	v_accvgpr_read_b32 v153, a31
	v_mul_f64 v[128:129], v[136:137], s[6:7]
	v_accvgpr_read_b32 v147, a75
	v_accvgpr_read_b32 v152, a30
	;; [unrolled: 1-line block ×3, first 2 shown]
	v_add_f64 v[128:129], v[128:129], -v[152:153]
	v_add_f64 v[132:133], v[132:133], -v[146:147]
	v_add_f64 v[128:129], v[16:17], v[128:129]
	v_add_f64 v[142:143], v[142:143], -v[226:227]
	v_add_f64 v[128:129], v[132:133], v[128:129]
	v_add_f64 v[128:129], v[142:143], v[128:129]
	v_accvgpr_read_b32 v179, a27
	v_mul_f64 v[132:133], v[160:161], s[16:17]
	v_mul_f64 v[156:157], v[160:161], s[10:11]
	v_add_f64 v[128:129], v[140:141], v[128:129]
	v_mul_f64 v[140:141], v[166:167], s[20:21]
	v_mul_f64 v[160:161], v[166:167], s[22:23]
	;; [unrolled: 1-line block ×3, first 2 shown]
	v_accvgpr_read_b32 v178, a26
	v_mul_f64 v[86:87], v[184:185], s[16:17]
	v_add_f64 v[166:167], v[178:179], v[166:167]
	v_accvgpr_read_b32 v179, a25
	v_add_f64 v[86:87], v[126:127], v[86:87]
	v_mul_f64 v[126:127], v[138:139], s[0:1]
	v_mul_f64 v[122:123], v[138:139], s[14:15]
	;; [unrolled: 1-line block ×10, first 2 shown]
	v_accvgpr_read_b32 v178, a24
	v_add_f64 v[164:165], v[178:179], v[164:165]
	v_accvgpr_read_b32 v179, a23
	v_accvgpr_read_b32 v178, a22
	v_add_f64 v[160:161], v[178:179], v[160:161]
	v_accvgpr_read_b32 v179, a19
	;; [unrolled: 3-line block ×3, first 2 shown]
	v_accvgpr_read_b32 v178, a12
	v_mul_f64 v[124:125], v[136:137], s[0:1]
	v_mul_f64 v[120:121], v[136:137], s[14:15]
	;; [unrolled: 1-line block ×3, first 2 shown]
	v_add_f64 v[138:139], v[138:139], -v[236:237]
	v_add_f64 v[150:151], v[178:179], v[150:151]
	v_accvgpr_read_b32 v179, a9
	v_mul_f64 v[134:135], v[182:183], s[16:17]
	v_add_f64 v[136:137], v[136:137], -v[238:239]
	v_add_f64 v[128:129], v[138:139], v[128:129]
	v_accvgpr_read_b32 v178, a8
	v_add_f64 v[122:123], v[0:1], v[122:123]
	v_accvgpr_read_b32 v0, a20
	v_add_f64 v[86:87], v[86:87], v[88:89]
	v_mul_f64 v[88:89], v[192:193], s[22:23]
	v_add_f64 v[134:135], v[134:135], -v[240:241]
	v_add_f64 v[128:129], v[136:137], v[128:129]
	v_mul_f64 v[136:137], v[176:177], s[18:19]
	v_mul_f64 v[176:177], v[192:193], s[0:1]
	v_add_f64 v[130:131], v[178:179], v[130:131]
	v_add_f64 v[122:123], v[18:19], v[122:123]
	v_accvgpr_read_b32 v1, a21
	v_add_f64 v[88:89], v[88:89], -v[248:249]
	v_add_f64 v[128:129], v[134:135], v[128:129]
	v_add_f64 v[122:123], v[130:131], v[122:123]
	v_add_f64 v[130:131], v[176:177], -v[0:1]
	v_accvgpr_read_b32 v0, a16
	v_add_f64 v[86:87], v[84:85], v[86:87]
	v_add_f64 v[84:85], v[88:89], v[128:129]
	v_mul_f64 v[128:129], v[182:183], s[6:7]
	v_accvgpr_read_b32 v1, a17
	v_add_f64 v[128:129], v[128:129], -v[0:1]
	v_accvgpr_read_b32 v0, a14
	v_mul_f64 v[162:163], v[174:175], s[20:21]
	v_accvgpr_read_b32 v1, a15
	v_add_f64 v[122:123], v[150:151], v[122:123]
	v_add_f64 v[150:151], v[162:163], -v[0:1]
	v_accvgpr_read_b32 v0, a10
	v_accvgpr_read_b32 v1, a11
	v_add_f64 v[122:123], v[156:157], v[122:123]
	v_add_f64 v[156:157], v[158:159], -v[0:1]
	v_accvgpr_read_b32 v0, a80
	v_accvgpr_read_b32 v1, a81
	v_add_f64 v[148:149], v[148:149], -v[0:1]
	v_accvgpr_read_b32 v0, a78
	v_accvgpr_read_b32 v1, a79
	;; [unrolled: 3-line block ×3, first 2 shown]
	v_add_f64 v[120:121], v[120:121], -v[0:1]
	v_add_f64 v[120:121], v[16:17], v[120:121]
	v_add_f64 v[90:91], v[90:91], v[120:121]
	v_add_f64 v[154:155], v[154:155], -v[14:15]
	v_add_f64 v[90:91], v[148:149], v[90:91]
	v_add_f64 v[90:91], v[154:155], v[90:91]
	;; [unrolled: 1-line block ×4, first 2 shown]
	v_accvgpr_read_b32 v0, a68
	v_mul_f64 v[138:139], v[174:175], s[18:19]
	v_mul_f64 v[174:175], v[202:203], s[10:11]
	v_add_f64 v[90:91], v[128:129], v[90:91]
	v_accvgpr_read_b32 v1, a69
	v_add_f64 v[120:121], v[130:131], v[90:91]
	v_add_f64 v[90:91], v[0:1], v[174:175]
	v_accvgpr_read_b32 v0, a66
	v_mul_f64 v[88:89], v[184:185], s[22:23]
	v_accvgpr_read_b32 v1, a67
	v_add_f64 v[88:89], v[0:1], v[88:89]
	v_accvgpr_read_b32 v0, a62
	v_accvgpr_read_b32 v1, a63
	v_add_f64 v[128:129], v[0:1], v[136:137]
	v_accvgpr_read_b32 v0, a58
	;; [unrolled: 3-line block ×6, first 2 shown]
	v_accvgpr_read_b32 v1, a45
	v_add_f64 v[126:127], v[0:1], v[126:127]
	v_add_f64 v[126:127], v[18:19], v[126:127]
	;; [unrolled: 1-line block ×5, first 2 shown]
	v_accvgpr_read_b32 v173, a29
	v_add_f64 v[92:93], v[130:131], v[92:93]
	v_mul_f64 v[170:171], v[202:203], s[0:1]
	v_accvgpr_read_b32 v172, a28
	v_add_f64 v[92:93], v[128:129], v[92:93]
	v_accvgpr_read_b32 v0, a60
	v_add_f64 v[170:171], v[172:173], v[170:171]
	v_mul_f64 v[172:173], v[192:193], s[10:11]
	v_add_f64 v[88:89], v[88:89], v[92:93]
	v_accvgpr_read_b32 v1, a61
	v_add_f64 v[126:127], v[90:91], v[88:89]
	v_add_f64 v[88:89], v[172:173], -v[0:1]
	v_accvgpr_read_b32 v0, a56
	v_mul_f64 v[134:135], v[182:183], s[22:23]
	v_accvgpr_read_b32 v1, a57
	v_add_f64 v[90:91], v[134:135], -v[0:1]
	v_accvgpr_read_b32 v0, a54
	v_accvgpr_read_b32 v1, a55
	v_add_f64 v[92:93], v[138:139], -v[0:1]
	v_accvgpr_read_b32 v0, a52
	;; [unrolled: 3-line block ×6, first 2 shown]
	v_accvgpr_read_b32 v1, a37
	v_add_f64 v[124:125], v[124:125], -v[0:1]
	v_add_f64 v[124:125], v[16:17], v[124:125]
	v_add_f64 v[18:19], v[18:19], v[22:23]
	;; [unrolled: 1-line block ×30, first 2 shown]
	v_accvgpr_read_b32 v194, a0
	v_add_f64 v[122:123], v[160:161], v[122:123]
	v_add_f64 v[94:95], v[128:129], v[94:95]
	;; [unrolled: 1-line block ×4, first 2 shown]
	v_accvgpr_read_b32 v195, a6
	v_add_f64 v[122:123], v[164:165], v[122:123]
	v_add_f64 v[92:93], v[92:93], v[94:95]
	;; [unrolled: 1-line block ×4, first 2 shown]
	v_mul_lo_u16_e32 v0, 17, v194
	v_add_f64 v[122:123], v[166:167], v[122:123]
	v_add_f64 v[90:91], v[90:91], v[92:93]
	;; [unrolled: 1-line block ×4, first 2 shown]
	v_add_lshl_u32 v0, v195, v0, 4
	v_add_f64 v[122:123], v[170:171], v[122:123]
	v_add_f64 v[124:125], v[88:89], v[90:91]
	ds_write_b128 v0, v[16:19]
	ds_write_b128 v0, v[124:127] offset:16
	ds_write_b128 v0, v[120:123] offset:32
	;; [unrolled: 1-line block ×15, first 2 shown]
	v_mov_b64_e32 v[16:17], v[12:13]
	v_mov_b64_e32 v[14:15], v[10:11]
	;; [unrolled: 1-line block ×8, first 2 shown]
	ds_write_b128 v0, a[2:5] offset:256
.LBB0_7:
	s_or_b64 exec, exec, s[26:27]
	v_mul_u32_u24_e32 v0, 12, v194
	v_lshlrev_b32_e32 v0, 4, v0
	s_load_dwordx4 s[0:3], s[2:3], 0x0
	s_waitcnt lgkmcnt(0)
	s_barrier
	global_load_dwordx4 v[28:31], v0, s[4:5]
	global_load_dwordx4 v[24:27], v0, s[4:5] offset:16
	global_load_dwordx4 v[20:23], v0, s[4:5] offset:32
	global_load_dwordx4 v[16:19], v0, s[4:5] offset:48
	global_load_dwordx4 v[44:47], v0, s[4:5] offset:64
	global_load_dwordx4 v[40:43], v0, s[4:5] offset:80
	global_load_dwordx4 v[36:39], v0, s[4:5] offset:96
	global_load_dwordx4 v[32:35], v0, s[4:5] offset:112
	global_load_dwordx4 v[60:63], v0, s[4:5] offset:128
	global_load_dwordx4 v[56:59], v0, s[4:5] offset:144
	global_load_dwordx4 v[52:55], v0, s[4:5] offset:160
	global_load_dwordx4 v[48:51], v0, s[4:5] offset:176
	v_add_lshl_u32 v235, v195, v194, 4
	ds_read_b128 v[98:101], v235
	ds_read_b128 v[64:67], v235 offset:272
	ds_read_b128 v[72:75], v235 offset:544
	;; [unrolled: 1-line block ×12, first 2 shown]
	s_mov_b32 s24, 0x42a4c3d2
	s_mov_b32 s34, 0x66966769
	;; [unrolled: 1-line block ×30, first 2 shown]
	v_accvgpr_read_b32 v0, a1
	v_lshl_add_u32 v234, v194, 4, v0
	s_waitcnt vmcnt(11) lgkmcnt(11)
	v_mul_f64 v[96:97], v[66:67], v[30:31]
	s_waitcnt vmcnt(10) lgkmcnt(10)
	v_mul_f64 v[136:137], v[74:75], v[26:27]
	v_fma_f64 v[164:165], v[64:65], v[28:29], -v[96:97]
	v_mul_f64 v[134:135], v[64:65], v[30:31]
	s_waitcnt vmcnt(9) lgkmcnt(9)
	v_mul_f64 v[140:141], v[82:83], v[22:23]
	v_fma_f64 v[136:137], v[72:73], v[24:25], -v[136:137]
	v_add_f64 v[64:65], v[98:99], v[164:165]
	v_mul_f64 v[138:139], v[72:73], v[26:27]
	s_waitcnt vmcnt(8) lgkmcnt(8)
	v_mul_f64 v[142:143], v[90:91], v[18:19]
	v_fmac_f64_e32 v[134:135], v[66:67], v[28:29]
	v_fma_f64 v[96:97], v[80:81], v[20:21], -v[140:141]
	v_add_f64 v[64:65], v[64:65], v[136:137]
	v_mul_f64 v[92:93], v[80:81], v[22:23]
	v_mul_f64 v[84:85], v[88:89], v[18:19]
	s_waitcnt vmcnt(7) lgkmcnt(7)
	v_mul_f64 v[144:145], v[104:105], v[46:47]
	v_fmac_f64_e32 v[138:139], v[74:75], v[24:25]
	v_fma_f64 v[88:89], v[88:89], v[16:17], -v[142:143]
	v_add_f64 v[66:67], v[100:101], v[134:135]
	v_add_f64 v[64:65], v[64:65], v[96:97]
	s_waitcnt vmcnt(6) lgkmcnt(6)
	v_mul_f64 v[146:147], v[108:109], v[42:43]
	v_fmac_f64_e32 v[92:93], v[82:83], v[20:21]
	v_fma_f64 v[80:81], v[102:103], v[44:45], -v[144:145]
	v_add_f64 v[66:67], v[66:67], v[138:139]
	v_add_f64 v[64:65], v[64:65], v[88:89]
	v_mul_f64 v[76:77], v[102:103], v[46:47]
	s_waitcnt vmcnt(5) lgkmcnt(5)
	v_mul_f64 v[148:149], v[112:113], v[38:39]
	v_fmac_f64_e32 v[84:85], v[90:91], v[16:17]
	v_fma_f64 v[72:73], v[106:107], v[40:41], -v[146:147]
	v_add_f64 v[66:67], v[66:67], v[92:93]
	v_add_f64 v[64:65], v[64:65], v[80:81]
	v_mul_f64 v[68:69], v[106:107], v[42:43]
	;; [unrolled: 7-line block ×6, first 2 shown]
	s_waitcnt vmcnt(0) lgkmcnt(0)
	v_mul_f64 v[160:161], v[132:133], v[50:51]
	v_mul_f64 v[162:163], v[130:131], v[50:51]
	v_fmac_f64_e32 v[86:87], v[120:121], v[60:61]
	v_fma_f64 v[104:105], v[126:127], v[52:53], -v[156:157]
	v_add_f64 v[66:67], v[66:67], v[78:79]
	v_add_f64 v[64:65], v[64:65], v[102:103]
	v_mul_f64 v[158:159], v[126:127], v[54:55]
	v_fmac_f64_e32 v[94:95], v[124:125], v[56:57]
	v_fma_f64 v[106:107], v[130:131], v[48:49], -v[160:161]
	v_fmac_f64_e32 v[162:163], v[132:133], v[48:49]
	v_add_f64 v[66:67], v[66:67], v[86:87]
	v_add_f64 v[64:65], v[64:65], v[104:105]
	v_fmac_f64_e32 v[158:159], v[128:129], v[52:53]
	v_add_f64 v[66:67], v[66:67], v[94:95]
	v_add_f64 v[64:65], v[64:65], v[106:107]
	;; [unrolled: 1-line block ×3, first 2 shown]
	v_add_f64 v[106:107], v[164:165], -v[106:107]
	v_add_f64 v[112:113], v[134:135], -v[162:163]
	v_add_f64 v[66:67], v[66:67], v[158:159]
	v_add_f64 v[110:111], v[134:135], v[162:163]
	v_mul_f64 v[114:115], v[112:113], s[14:15]
	v_mul_f64 v[118:119], v[106:107], s[14:15]
	;; [unrolled: 1-line block ×12, first 2 shown]
	v_add_f64 v[66:67], v[66:67], v[162:163]
	v_fma_f64 v[116:117], v[108:109], s[10:11], -v[114:115]
	v_fma_f64 v[120:121], s[10:11], v[110:111], v[118:119]
	v_fmac_f64_e32 v[114:115], s[10:11], v[108:109]
	v_fma_f64 v[118:119], v[110:111], s[10:11], -v[118:119]
	v_fma_f64 v[124:125], v[108:109], s[6:7], -v[122:123]
	v_fma_f64 v[128:129], s[6:7], v[110:111], v[126:127]
	v_fmac_f64_e32 v[122:123], s[6:7], v[108:109]
	v_fma_f64 v[126:127], v[110:111], s[6:7], -v[126:127]
	;; [unrolled: 4-line block ×6, first 2 shown]
	v_add_f64 v[110:111], v[138:139], -v[158:159]
	v_add_f64 v[116:117], v[98:99], v[116:117]
	v_add_f64 v[120:121], v[100:101], v[120:121]
	;; [unrolled: 1-line block ×25, first 2 shown]
	v_mul_f64 v[112:113], v[110:111], s[24:25]
	v_add_f64 v[104:105], v[136:137], -v[104:105]
	v_fma_f64 v[136:137], v[106:107], s[6:7], -v[112:113]
	v_add_f64 v[108:109], v[138:139], v[158:159]
	v_add_f64 v[116:117], v[136:137], v[116:117]
	v_mul_f64 v[136:137], v[104:105], s[24:25]
	v_fmac_f64_e32 v[112:113], s[6:7], v[106:107]
	v_add_f64 v[112:113], v[112:113], v[114:115]
	v_fma_f64 v[114:115], v[108:109], s[6:7], -v[136:137]
	v_add_f64 v[114:115], v[114:115], v[118:119]
	v_mul_f64 v[118:119], v[110:111], s[18:19]
	v_fma_f64 v[138:139], s[6:7], v[108:109], v[136:137]
	v_fma_f64 v[136:137], v[106:107], s[16:17], -v[118:119]
	v_add_f64 v[124:125], v[136:137], v[124:125]
	v_mul_f64 v[136:137], v[104:105], s[18:19]
	v_fmac_f64_e32 v[118:119], s[16:17], v[106:107]
	v_add_f64 v[118:119], v[118:119], v[122:123]
	v_fma_f64 v[122:123], v[108:109], s[16:17], -v[136:137]
	v_add_f64 v[122:123], v[122:123], v[126:127]
	v_mul_f64 v[126:127], v[110:111], s[30:31]
	v_add_f64 v[120:121], v[138:139], v[120:121]
	v_fma_f64 v[138:139], s[16:17], v[108:109], v[136:137]
	v_fma_f64 v[136:137], v[106:107], s[28:29], -v[126:127]
	v_add_f64 v[132:133], v[136:137], v[132:133]
	v_mul_f64 v[136:137], v[104:105], s[30:31]
	v_fmac_f64_e32 v[126:127], s[28:29], v[106:107]
	v_add_f64 v[126:127], v[126:127], v[130:131]
	v_fma_f64 v[130:131], v[108:109], s[28:29], -v[136:137]
	v_add_f64 v[128:129], v[138:139], v[128:129]
	v_fma_f64 v[138:139], s[28:29], v[108:109], v[136:137]
	v_add_f64 v[130:131], v[130:131], v[134:135]
	v_mul_f64 v[134:135], v[110:111], s[36:37]
	v_add_f64 v[138:139], v[138:139], v[140:141]
	v_fma_f64 v[136:137], v[106:107], s[20:21], -v[134:135]
	v_mul_f64 v[140:141], v[104:105], s[36:37]
	v_fmac_f64_e32 v[134:135], s[20:21], v[106:107]
	v_add_f64 v[136:137], v[136:137], v[144:145]
	v_fma_f64 v[144:145], s[20:21], v[108:109], v[140:141]
	v_add_f64 v[134:135], v[134:135], v[142:143]
	v_fma_f64 v[140:141], v[108:109], s[20:21], -v[140:141]
	v_mul_f64 v[142:143], v[110:111], s[26:27]
	v_add_f64 v[144:145], v[144:145], v[148:149]
	v_add_f64 v[140:141], v[140:141], v[146:147]
	v_fma_f64 v[146:147], v[106:107], s[4:5], -v[142:143]
	v_mul_f64 v[148:149], v[104:105], s[26:27]
	s_mov_b32 s15, 0x3fddbe06
	v_add_f64 v[146:147], v[146:147], v[152:153]
	v_fma_f64 v[152:153], s[4:5], v[108:109], v[148:149]
	v_fmac_f64_e32 v[142:143], s[4:5], v[106:107]
	v_fma_f64 v[148:149], v[108:109], s[4:5], -v[148:149]
	v_mul_f64 v[110:111], v[110:111], s[14:15]
	v_mul_f64 v[104:105], v[104:105], s[14:15]
	v_add_f64 v[142:143], v[142:143], v[150:151]
	v_add_f64 v[148:149], v[148:149], v[154:155]
	v_fma_f64 v[150:151], v[106:107], s[10:11], -v[110:111]
	v_fma_f64 v[154:155], s[10:11], v[108:109], v[104:105]
	v_fmac_f64_e32 v[110:111], s[10:11], v[106:107]
	v_fma_f64 v[104:105], v[108:109], s[10:11], -v[104:105]
	v_add_f64 v[106:107], v[92:93], v[94:95]
	v_add_f64 v[92:93], v[92:93], -v[94:95]
	v_add_f64 v[100:101], v[104:105], v[100:101]
	v_add_f64 v[104:105], v[96:97], v[102:103]
	v_add_f64 v[96:97], v[96:97], -v[102:103]
	v_mul_f64 v[94:95], v[92:93], s[34:35]
	v_fma_f64 v[102:103], v[104:105], s[4:5], -v[94:95]
	v_mul_f64 v[108:109], v[96:97], s[34:35]
	v_fmac_f64_e32 v[94:95], s[4:5], v[104:105]
	v_add_f64 v[98:99], v[110:111], v[98:99]
	v_fma_f64 v[110:111], s[4:5], v[106:107], v[108:109]
	v_add_f64 v[94:95], v[94:95], v[112:113]
	v_fma_f64 v[108:109], v[106:107], s[4:5], -v[108:109]
	v_mul_f64 v[112:113], v[92:93], s[30:31]
	v_add_f64 v[102:103], v[102:103], v[116:117]
	v_add_f64 v[108:109], v[108:109], v[114:115]
	v_fma_f64 v[114:115], v[104:105], s[28:29], -v[112:113]
	v_mul_f64 v[116:117], v[96:97], s[30:31]
	v_fmac_f64_e32 v[112:113], s[28:29], v[104:105]
	v_add_f64 v[110:111], v[110:111], v[120:121]
	v_fma_f64 v[120:121], s[28:29], v[106:107], v[116:117]
	v_add_f64 v[112:113], v[112:113], v[118:119]
	v_fma_f64 v[116:117], v[106:107], s[28:29], -v[116:117]
	v_mul_f64 v[118:119], v[92:93], s[38:39]
	v_add_f64 v[114:115], v[114:115], v[124:125]
	v_add_f64 v[116:117], v[116:117], v[122:123]
	;; [unrolled: 10-line block ×4, first 2 shown]
	v_fma_f64 v[138:139], v[104:105], s[6:7], -v[134:135]
	v_mul_f64 v[140:141], v[96:97], s[24:25]
	v_mul_f64 v[96:97], v[96:97], s[22:23]
	v_add_f64 v[138:139], v[138:139], v[146:147]
	v_fmac_f64_e32 v[134:135], s[6:7], v[104:105]
	v_mul_f64 v[92:93], v[92:93], s[22:23]
	v_fma_f64 v[146:147], s[20:21], v[106:107], v[96:97]
	v_fma_f64 v[96:97], v[106:107], s[20:21], -v[96:97]
	v_add_f64 v[134:135], v[134:135], v[142:143]
	v_fma_f64 v[142:143], v[104:105], s[20:21], -v[92:93]
	v_fmac_f64_e32 v[92:93], s[20:21], v[104:105]
	v_add_f64 v[96:97], v[96:97], v[100:101]
	v_add_f64 v[100:101], v[84:85], v[86:87]
	v_add_f64 v[84:85], v[84:85], -v[86:87]
	v_add_f64 v[92:93], v[92:93], v[98:99]
	v_add_f64 v[98:99], v[88:89], v[90:91]
	v_mul_f64 v[86:87], v[84:85], s[18:19]
	v_add_f64 v[88:89], v[88:89], -v[90:91]
	v_fma_f64 v[90:91], v[98:99], s[16:17], -v[86:87]
	v_add_f64 v[90:91], v[90:91], v[102:103]
	v_mul_f64 v[102:103], v[88:89], s[18:19]
	v_fmac_f64_e32 v[86:87], s[16:17], v[98:99]
	v_fma_f64 v[104:105], s[16:17], v[100:101], v[102:103]
	v_add_f64 v[86:87], v[86:87], v[94:95]
	v_fma_f64 v[94:95], v[100:101], s[16:17], -v[102:103]
	v_mul_f64 v[102:103], v[84:85], s[36:37]
	v_add_f64 v[136:137], v[136:137], v[144:145]
	v_fma_f64 v[144:145], s[6:7], v[106:107], v[140:141]
	v_fma_f64 v[140:141], v[106:107], s[6:7], -v[140:141]
	v_add_f64 v[94:95], v[94:95], v[108:109]
	v_fma_f64 v[106:107], v[98:99], s[20:21], -v[102:103]
	v_mul_f64 v[108:109], v[88:89], s[36:37]
	v_fmac_f64_e32 v[102:103], s[20:21], v[98:99]
	v_add_f64 v[104:105], v[104:105], v[110:111]
	v_fma_f64 v[110:111], s[20:21], v[100:101], v[108:109]
	v_add_f64 v[102:103], v[102:103], v[112:113]
	v_fma_f64 v[108:109], v[100:101], s[20:21], -v[108:109]
	v_mul_f64 v[112:113], v[84:85], s[14:15]
	v_add_f64 v[106:107], v[106:107], v[114:115]
	v_add_f64 v[108:109], v[108:109], v[116:117]
	v_fma_f64 v[114:115], v[98:99], s[10:11], -v[112:113]
	v_mul_f64 v[116:117], v[88:89], s[14:15]
	v_fmac_f64_e32 v[112:113], s[10:11], v[98:99]
	v_add_f64 v[110:111], v[110:111], v[120:121]
	v_fma_f64 v[120:121], s[10:11], v[100:101], v[116:117]
	v_add_f64 v[112:113], v[112:113], v[118:119]
	v_fma_f64 v[116:117], v[100:101], s[10:11], -v[116:117]
	v_mul_f64 v[118:119], v[84:85], s[34:35]
	v_add_f64 v[114:115], v[114:115], v[122:123]
	v_add_f64 v[116:117], v[116:117], v[124:125]
	v_fma_f64 v[122:123], v[98:99], s[4:5], -v[118:119]
	v_mul_f64 v[124:125], v[88:89], s[34:35]
	v_fmac_f64_e32 v[118:119], s[4:5], v[98:99]
	s_mov_b32 s37, 0x3fcea1e5
	s_mov_b32 s36, s30
	v_add_f64 v[120:121], v[120:121], v[128:129]
	v_fma_f64 v[128:129], s[4:5], v[100:101], v[124:125]
	v_add_f64 v[118:119], v[118:119], v[126:127]
	v_fma_f64 v[124:125], v[100:101], s[4:5], -v[124:125]
	v_mul_f64 v[126:127], v[84:85], s[36:37]
	s_mov_b32 s35, 0x3fea55e2
	s_mov_b32 s34, s24
	v_add_f64 v[122:123], v[122:123], v[130:131]
	v_add_f64 v[124:125], v[124:125], v[132:133]
	v_fma_f64 v[130:131], v[98:99], s[28:29], -v[126:127]
	v_mul_f64 v[132:133], v[88:89], s[36:37]
	v_mul_f64 v[88:89], v[88:89], s[34:35]
	v_add_f64 v[130:131], v[130:131], v[138:139]
	v_fmac_f64_e32 v[126:127], s[28:29], v[98:99]
	v_mul_f64 v[84:85], v[84:85], s[34:35]
	v_fma_f64 v[138:139], s[6:7], v[100:101], v[88:89]
	v_fma_f64 v[88:89], v[100:101], s[6:7], -v[88:89]
	v_add_f64 v[126:127], v[126:127], v[134:135]
	v_fma_f64 v[134:135], v[98:99], s[6:7], -v[84:85]
	v_fmac_f64_e32 v[84:85], s[6:7], v[98:99]
	v_add_f64 v[88:89], v[88:89], v[96:97]
	v_add_f64 v[96:97], v[76:77], v[78:79]
	v_add_f64 v[76:77], v[76:77], -v[78:79]
	v_add_f64 v[84:85], v[84:85], v[92:93]
	v_add_f64 v[92:93], v[80:81], v[82:83]
	v_mul_f64 v[78:79], v[76:77], s[22:23]
	v_add_f64 v[80:81], v[80:81], -v[82:83]
	v_fma_f64 v[82:83], v[92:93], s[20:21], -v[78:79]
	v_add_f64 v[82:83], v[82:83], v[90:91]
	v_mul_f64 v[90:91], v[80:81], s[22:23]
	v_fmac_f64_e32 v[78:79], s[20:21], v[92:93]
	v_fma_f64 v[98:99], s[20:21], v[96:97], v[90:91]
	v_add_f64 v[78:79], v[78:79], v[86:87]
	v_fma_f64 v[86:87], v[96:97], s[20:21], -v[90:91]
	v_mul_f64 v[90:91], v[76:77], s[26:27]
	v_add_f64 v[128:129], v[128:129], v[136:137]
	v_fma_f64 v[136:137], s[28:29], v[100:101], v[132:133]
	v_fma_f64 v[132:133], v[100:101], s[28:29], -v[132:133]
	v_add_f64 v[86:87], v[86:87], v[94:95]
	v_fma_f64 v[94:95], v[92:93], s[4:5], -v[90:91]
	v_mul_f64 v[100:101], v[80:81], s[26:27]
	v_fmac_f64_e32 v[90:91], s[4:5], v[92:93]
	v_add_f64 v[102:103], v[90:91], v[102:103]
	v_fma_f64 v[90:91], v[96:97], s[4:5], -v[100:101]
	v_add_f64 v[98:99], v[98:99], v[104:105]
	v_fma_f64 v[104:105], s[4:5], v[96:97], v[100:101]
	v_add_f64 v[100:101], v[90:91], v[108:109]
	v_mul_f64 v[90:91], v[76:77], s[24:25]
	v_add_f64 v[94:95], v[94:95], v[106:107]
	v_fma_f64 v[106:107], v[92:93], s[6:7], -v[90:91]
	v_mul_f64 v[108:109], v[80:81], s[24:25]
	v_fmac_f64_e32 v[90:91], s[6:7], v[92:93]
	v_add_f64 v[112:113], v[90:91], v[112:113]
	v_fma_f64 v[90:91], v[96:97], s[6:7], -v[108:109]
	v_add_f64 v[104:105], v[104:105], v[110:111]
	v_fma_f64 v[110:111], s[6:7], v[96:97], v[108:109]
	v_add_f64 v[108:109], v[90:91], v[116:117]
	v_mul_f64 v[90:91], v[76:77], s[36:37]
	;; [unrolled: 10-line block ×3, first 2 shown]
	v_add_f64 v[150:151], v[150:151], v[160:161]
	v_add_f64 v[140:141], v[140:141], v[148:149]
	;; [unrolled: 1-line block ×3, first 2 shown]
	v_fma_f64 v[122:123], v[92:93], s[10:11], -v[90:91]
	v_mul_f64 v[124:125], v[80:81], s[14:15]
	v_fmac_f64_e32 v[90:91], s[10:11], v[92:93]
	v_add_f64 v[152:153], v[152:153], v[156:157]
	v_add_f64 v[154:155], v[154:155], v[162:163]
	;; [unrolled: 1-line block ×5, first 2 shown]
	v_fma_f64 v[90:91], v[96:97], s[10:11], -v[124:125]
	v_mul_f64 v[76:77], v[76:77], s[18:19]
	v_add_f64 v[144:145], v[144:145], v[152:153]
	v_add_f64 v[146:147], v[146:147], v[154:155]
	;; [unrolled: 1-line block ×4, first 2 shown]
	v_fma_f64 v[128:129], s[10:11], v[96:97], v[124:125]
	v_add_f64 v[124:125], v[90:91], v[132:133]
	v_fma_f64 v[90:91], v[92:93], s[16:17], -v[76:77]
	v_mul_f64 v[80:81], v[80:81], s[18:19]
	v_add_f64 v[136:137], v[136:137], v[144:145]
	v_add_f64 v[138:139], v[138:139], v[146:147]
	v_add_f64 v[122:123], v[122:123], v[130:131]
	v_add_f64 v[130:131], v[90:91], v[134:135]
	v_fma_f64 v[90:91], s[16:17], v[96:97], v[80:81]
	v_add_f64 v[144:145], v[68:69], -v[70:71]
	v_add_f64 v[132:133], v[90:91], v[138:139]
	v_fmac_f64_e32 v[76:77], s[16:17], v[92:93]
	v_add_f64 v[138:139], v[72:73], v[74:75]
	v_add_f64 v[142:143], v[72:73], -v[74:75]
	v_mul_f64 v[72:73], v[144:145], s[30:31]
	v_add_f64 v[134:135], v[76:77], v[84:85]
	v_fma_f64 v[76:77], v[96:97], s[16:17], -v[80:81]
	v_add_f64 v[140:141], v[68:69], v[70:71]
	v_fma_f64 v[68:69], v[138:139], s[28:29], -v[72:73]
	v_mul_f64 v[74:75], v[142:143], s[30:31]
	v_fmac_f64_e32 v[72:73], s[28:29], v[138:139]
	v_add_f64 v[128:129], v[128:129], v[136:137]
	v_add_f64 v[136:137], v[76:77], v[88:89]
	;; [unrolled: 1-line block ×3, first 2 shown]
	v_fma_f64 v[72:73], v[140:141], s[28:29], -v[74:75]
	v_mul_f64 v[76:77], v[144:145], s[14:15]
	v_add_f64 v[90:91], v[72:73], v[86:87]
	v_fma_f64 v[72:73], v[138:139], s[10:11], -v[76:77]
	v_mul_f64 v[78:79], v[142:143], s[14:15]
	v_fmac_f64_e32 v[76:77], s[10:11], v[138:139]
	v_add_f64 v[92:93], v[76:77], v[102:103]
	v_fma_f64 v[76:77], v[140:141], s[10:11], -v[78:79]
	v_mul_f64 v[80:81], v[144:145], s[22:23]
	v_add_f64 v[68:69], v[68:69], v[82:83]
	v_add_f64 v[72:73], v[72:73], v[94:95]
	;; [unrolled: 1-line block ×3, first 2 shown]
	v_fma_f64 v[76:77], v[138:139], s[20:21], -v[80:81]
	v_mul_f64 v[82:83], v[142:143], s[22:23]
	v_fmac_f64_e32 v[80:81], s[20:21], v[138:139]
	v_fma_f64 v[70:71], s[28:29], v[140:141], v[74:75]
	v_add_f64 v[96:97], v[80:81], v[112:113]
	v_fma_f64 v[80:81], v[140:141], s[20:21], -v[82:83]
	v_mul_f64 v[84:85], v[144:145], s[34:35]
	v_add_f64 v[70:71], v[70:71], v[98:99]
	v_fma_f64 v[74:75], s[10:11], v[140:141], v[78:79]
	v_add_f64 v[98:99], v[80:81], v[108:109]
	v_fma_f64 v[80:81], v[138:139], s[6:7], -v[84:85]
	v_mul_f64 v[86:87], v[142:143], s[34:35]
	v_fmac_f64_e32 v[84:85], s[6:7], v[138:139]
	v_add_f64 v[74:75], v[74:75], v[104:105]
	v_add_f64 v[104:105], v[84:85], v[118:119]
	v_fma_f64 v[84:85], v[140:141], s[6:7], -v[86:87]
	v_mul_f64 v[100:101], v[144:145], s[18:19]
	v_add_f64 v[76:77], v[76:77], v[106:107]
	v_add_f64 v[106:107], v[84:85], v[116:117]
	v_fma_f64 v[84:85], v[138:139], s[16:17], -v[100:101]
	v_mul_f64 v[102:103], v[142:143], s[18:19]
	v_fmac_f64_e32 v[100:101], s[16:17], v[138:139]
	v_fma_f64 v[78:79], s[20:21], v[140:141], v[82:83]
	v_add_f64 v[80:81], v[80:81], v[114:115]
	v_add_f64 v[108:109], v[100:101], v[126:127]
	v_fma_f64 v[100:101], v[140:141], s[16:17], -v[102:103]
	v_mul_f64 v[112:113], v[144:145], s[26:27]
	v_mul_f64 v[114:115], v[142:143], s[26:27]
	v_add_f64 v[78:79], v[78:79], v[110:111]
	v_fma_f64 v[82:83], s[6:7], v[140:141], v[86:87]
	v_fma_f64 v[86:87], s[16:17], v[140:141], v[102:103]
	v_add_f64 v[110:111], v[100:101], v[124:125]
	v_fma_f64 v[100:101], v[138:139], s[4:5], -v[112:113]
	v_fma_f64 v[102:103], s[4:5], v[140:141], v[114:115]
	v_fmac_f64_e32 v[112:113], s[4:5], v[138:139]
	v_fma_f64 v[114:115], v[140:141], s[4:5], -v[114:115]
	v_add_f64 v[82:83], v[82:83], v[120:121]
	v_add_f64 v[84:85], v[84:85], v[122:123]
	;; [unrolled: 1-line block ×7, first 2 shown]
	ds_write_b128 v234, v[64:67]
	ds_write_b128 v234, v[68:71] offset:272
	ds_write_b128 v234, v[72:75] offset:544
	;; [unrolled: 1-line block ×12, first 2 shown]
	s_waitcnt lgkmcnt(0)
	s_barrier
	s_and_saveexec_b64 s[4:5], vcc
	s_cbranch_execz .LBB0_9
; %bb.8:
	global_load_dwordx4 v[116:119], v169, s[8:9] offset:3536
	s_add_u32 s6, s8, 0xdd0
	s_addc_u32 s7, s9, 0
	global_load_dwordx4 v[120:123], v169, s[6:7] offset:208
	global_load_dwordx4 v[124:127], v169, s[6:7] offset:416
	;; [unrolled: 1-line block ×12, first 2 shown]
	ds_read_b128 v[170:173], v234
	ds_read_b128 v[174:177], v234 offset:208
	global_load_dwordx4 v[178:181], v169, s[6:7] offset:2704
	ds_read_b128 v[182:185], v234 offset:416
	ds_read_b128 v[186:189], v234 offset:624
	ds_read_b128 v[190:193], v234 offset:832
	ds_read_b128 v[194:197], v234 offset:1040
	ds_read_b128 v[198:201], v234 offset:1248
	ds_read_b128 v[202:205], v234 offset:1456
	global_load_dwordx4 v[206:209], v169, s[6:7] offset:2912
	ds_read_b128 v[210:213], v234 offset:1664
	ds_read_b128 v[214:217], v234 offset:1872
	;; [unrolled: 1-line block ×4, first 2 shown]
	global_load_dwordx4 v[226:229], v169, s[6:7] offset:3120
	global_load_dwordx4 v[230:233], v169, s[6:7] offset:3328
	s_waitcnt vmcnt(10) lgkmcnt(5)
	v_mul_f64 v[240:241], v[200:201], v[142:143]
	s_waitcnt vmcnt(9) lgkmcnt(4)
	v_mul_f64 v[242:243], v[204:205], v[146:147]
	;; [unrolled: 2-line block ×3, first 2 shown]
	v_mul_f64 v[236:237], v[172:173], v[118:119]
	v_mul_f64 v[238:239], v[170:171], v[118:119]
	v_fma_f64 v[236:237], v[170:171], v[116:117], -v[236:237]
	v_fmac_f64_e32 v[238:239], v[172:173], v[116:117]
	v_mul_f64 v[116:117], v[176:177], v[122:123]
	v_mul_f64 v[118:119], v[174:175], v[122:123]
	ds_write_b128 v234, v[236:239]
	v_mul_f64 v[170:171], v[184:185], v[126:127]
	v_mul_f64 v[122:123], v[182:183], v[126:127]
	;; [unrolled: 1-line block ×11, first 2 shown]
	s_waitcnt vmcnt(7) lgkmcnt(3)
	v_mul_f64 v[246:247], v[216:217], v[154:155]
	v_mul_f64 v[150:151], v[214:215], v[154:155]
	s_waitcnt vmcnt(6) lgkmcnt(2)
	v_mul_f64 v[248:249], v[220:221], v[158:159]
	v_mul_f64 v[154:155], v[218:219], v[158:159]
	v_fma_f64 v[116:117], v[174:175], v[120:121], -v[116:117]
	v_fmac_f64_e32 v[118:119], v[176:177], v[120:121]
	v_fma_f64 v[120:121], v[182:183], v[124:125], -v[170:171]
	v_fmac_f64_e32 v[122:123], v[184:185], v[124:125]
	;; [unrolled: 2-line block ×10, first 2 shown]
	ds_write_b128 v234, v[116:119] offset:208
	ds_write_b128 v234, v[120:123] offset:416
	;; [unrolled: 1-line block ×10, first 2 shown]
	ds_read_b128 v[120:123], v234 offset:2496
	s_waitcnt vmcnt(5) lgkmcnt(12)
	v_mul_f64 v[116:117], v[224:225], v[162:163]
	v_mul_f64 v[118:119], v[222:223], v[162:163]
	v_fma_f64 v[116:117], v[222:223], v[160:161], -v[116:117]
	v_fmac_f64_e32 v[118:119], v[224:225], v[160:161]
	ds_write_b128 v234, v[116:119] offset:2288
	ds_read_b128 v[116:119], v234 offset:2704
	s_waitcnt vmcnt(4) lgkmcnt(2)
	v_mul_f64 v[124:125], v[122:123], v[166:167]
	v_mul_f64 v[126:127], v[120:121], v[166:167]
	v_fma_f64 v[124:125], v[120:121], v[164:165], -v[124:125]
	v_fmac_f64_e32 v[126:127], v[122:123], v[164:165]
	ds_write_b128 v234, v[124:127] offset:2496
	ds_read_b128 v[124:127], v234 offset:2912
	s_waitcnt vmcnt(3) lgkmcnt(2)
	v_mul_f64 v[120:121], v[118:119], v[180:181]
	v_mul_f64 v[122:123], v[116:117], v[180:181]
	v_fma_f64 v[120:121], v[116:117], v[178:179], -v[120:121]
	v_fmac_f64_e32 v[122:123], v[118:119], v[178:179]
	ds_read_b128 v[116:119], v234 offset:3120
	ds_write_b128 v234, v[120:123] offset:2704
	s_waitcnt vmcnt(2) lgkmcnt(2)
	v_mul_f64 v[120:121], v[126:127], v[208:209]
	v_mul_f64 v[122:123], v[124:125], v[208:209]
	v_fma_f64 v[120:121], v[124:125], v[206:207], -v[120:121]
	v_fmac_f64_e32 v[122:123], v[126:127], v[206:207]
	ds_write_b128 v234, v[120:123] offset:2912
	ds_read_b128 v[120:123], v234 offset:3328
	s_waitcnt vmcnt(1) lgkmcnt(3)
	v_mul_f64 v[124:125], v[118:119], v[228:229]
	v_mul_f64 v[126:127], v[116:117], v[228:229]
	v_fma_f64 v[124:125], v[116:117], v[226:227], -v[124:125]
	v_fmac_f64_e32 v[126:127], v[118:119], v[226:227]
	s_waitcnt vmcnt(0) lgkmcnt(0)
	v_mul_f64 v[116:117], v[122:123], v[232:233]
	v_mul_f64 v[118:119], v[120:121], v[232:233]
	v_accvgpr_read_b32 v194, a0
	v_fma_f64 v[116:117], v[120:121], v[230:231], -v[116:117]
	v_fmac_f64_e32 v[118:119], v[122:123], v[230:231]
	ds_write_b128 v234, v[124:127] offset:3120
	ds_write_b128 v234, v[116:119] offset:3328
.LBB0_9:
	s_or_b64 exec, exec, s[4:5]
	s_waitcnt lgkmcnt(0)
	s_barrier
	s_and_saveexec_b64 s[4:5], vcc
	s_cbranch_execz .LBB0_11
; %bb.10:
	ds_read_b128 v[64:67], v234
	ds_read_b128 v[68:71], v234 offset:208
	ds_read_b128 v[72:75], v234 offset:416
	;; [unrolled: 1-line block ×16, first 2 shown]
.LBB0_11:
	s_or_b64 exec, exec, s[4:5]
	s_waitcnt lgkmcnt(0)
	s_barrier
	s_and_saveexec_b64 s[4:5], vcc
	s_cbranch_execz .LBB0_13
; %bb.12:
	v_mov_b64_e32 v[152:153], v[12:13]
	v_add_f64 v[180:181], v[82:83], v[12:13]
	v_mov_b64_e32 v[150:151], v[10:11]
	v_accvgpr_read_b32 v15, a5
	v_accvgpr_read_b32 v13, a3
	;; [unrolled: 1-line block ×3, first 2 shown]
	s_mov_b32 s34, 0xacd6c6b4
	s_mov_b32 s38, 0x5d8e7cdc
	v_accvgpr_read_b32 v14, a4
	v_add_f64 v[216:217], v[68:69], -v[12:13]
	s_mov_b32 s35, 0xbfc7851a
	s_mov_b32 s28, 0x7faef3
	;; [unrolled: 1-line block ×3, first 2 shown]
	v_add_f64 v[214:215], v[72:73], -v[2:3]
	s_mov_b32 s39, 0x3fd71e95
	s_mov_b32 s24, 0x370991
	v_mul_f64 v[144:145], v[216:217], s[34:35]
	v_add_f64 v[192:193], v[70:71], v[14:15]
	s_mov_b32 s29, 0xbfef7484
	v_add_f64 v[232:233], v[70:71], -v[14:15]
	s_mov_b32 s44, 0x2a9d6da3
	v_add_f64 v[206:207], v[76:77], -v[6:7]
	s_mov_b32 s31, 0xbfe0d888
	s_mov_b32 s22, 0x910ea3b9
	v_mul_f64 v[140:141], v[214:215], s[38:39]
	v_add_f64 v[188:189], v[74:75], v[4:5]
	s_mov_b32 s25, 0x3fedd6d0
	v_fma_f64 v[146:147], s[28:29], v[192:193], v[144:145]
	v_add_f64 v[230:231], v[74:75], -v[4:5]
	v_add_f64 v[212:213], v[68:69], v[12:13]
	v_mul_f64 v[162:163], v[232:233], s[34:35]
	s_mov_b32 s26, 0x6c9a05f6
	v_add_f64 v[194:195], v[80:81], -v[10:11]
	s_mov_b32 s45, 0x3fe58eea
	s_mov_b32 s18, 0x75d4884
	v_mul_f64 v[136:137], v[206:207], s[30:31]
	v_add_f64 v[184:185], v[78:79], v[8:9]
	s_mov_b32 s23, 0xbfeb34fa
	v_fma_f64 v[142:143], s[24:25], v[188:189], v[140:141]
	v_add_f64 v[146:147], v[66:67], v[146:147]
	v_add_f64 v[228:229], v[78:79], -v[8:9]
	v_add_f64 v[210:211], v[72:73], v[2:3]
	v_mul_f64 v[158:159], v[230:231], s[38:39]
	v_fma_f64 v[164:165], v[212:213], s[28:29], -v[162:163]
	s_mov_b32 s36, 0x7c9e640b
	v_add_f64 v[190:191], v[84:85], -v[88:89]
	s_mov_b32 s27, 0xbfe9895b
	s_mov_b32 s16, 0x6ed5f1bb
	v_mul_f64 v[132:133], v[194:195], s[44:45]
	s_mov_b32 s19, 0x3fe7a5f6
	v_fma_f64 v[138:139], s[22:23], v[184:185], v[136:137]
	v_add_f64 v[142:143], v[142:143], v[146:147]
	v_add_f64 v[226:227], v[82:83], -v[152:153]
	v_accvgpr_write_b32 a18, v150
	v_add_f64 v[208:209], v[76:77], v[6:7]
	v_mul_f64 v[154:155], v[228:229], s[30:31]
	v_fma_f64 v[160:161], v[210:211], s[24:25], -v[158:159]
	v_add_f64 v[164:165], v[64:65], v[164:165]
	s_mov_b32 s20, 0x923c349f
	v_add_f64 v[186:187], v[100:101], -v[92:93]
	s_mov_b32 s37, 0x3feca52d
	s_mov_b32 s14, 0x2b2883cd
	v_mul_f64 v[128:129], v[190:191], s[26:27]
	v_add_f64 v[176:177], v[86:87], v[90:91]
	s_mov_b32 s17, 0xbfe348c8
	v_fma_f64 v[134:135], s[18:19], v[180:181], v[132:133]
	v_add_f64 v[138:139], v[138:139], v[142:143]
	v_add_f64 v[224:225], v[86:87], -v[90:91]
	v_add_f64 v[204:205], v[80:81], v[150:151]
	v_accvgpr_write_b32 a19, v151
	v_accvgpr_write_b32 a20, v152
	;; [unrolled: 1-line block ×3, first 2 shown]
	v_mul_f64 v[150:151], v[226:227], s[44:45]
	v_fma_f64 v[156:157], v[208:209], s[22:23], -v[154:155]
	v_add_f64 v[160:161], v[160:161], v[164:165]
	s_mov_b32 s48, 0xeb564b22
	v_add_f64 v[182:183], v[112:113], -v[96:97]
	s_mov_b32 s21, 0xbfeec746
	s_mov_b32 s10, 0xc61f0d01
	v_mul_f64 v[124:125], v[186:187], s[36:37]
	v_add_f64 v[174:175], v[102:103], v[94:95]
	s_mov_b32 s15, 0x3fdc86fa
	v_fma_f64 v[130:131], s[16:17], v[176:177], v[128:129]
	v_add_f64 v[134:135], v[134:135], v[138:139]
	v_add_f64 v[222:223], v[102:103], -v[94:95]
	v_add_f64 v[202:203], v[84:85], v[88:89]
	v_mul_f64 v[146:147], v[224:225], s[26:27]
	v_fma_f64 v[152:153], v[204:205], s[18:19], -v[150:151]
	v_add_f64 v[156:157], v[156:157], v[160:161]
	v_add_f64 v[178:179], v[108:109], -v[104:105]
	s_mov_b32 s49, 0x3fefdd0d
	s_mov_b32 s6, 0x3259b75e
	v_mul_f64 v[122:123], v[182:183], s[20:21]
	v_add_f64 v[172:173], v[114:115], v[98:99]
	s_mov_b32 s11, 0xbfd183b1
	v_fma_f64 v[126:127], s[14:15], v[174:175], v[124:125]
	v_add_f64 v[130:131], v[130:131], v[134:135]
	v_add_f64 v[220:221], v[114:115], -v[98:99]
	v_add_f64 v[200:201], v[100:101], v[92:93]
	v_mul_f64 v[138:139], v[222:223], s[36:37]
	v_fma_f64 v[148:149], v[202:203], s[16:17], -v[146:147]
	v_add_f64 v[152:153], v[152:153], v[156:157]
	v_mul_f64 v[120:121], v[178:179], s[48:49]
	v_add_f64 v[170:171], v[110:111], v[106:107]
	s_mov_b32 s7, 0x3fb79ee6
	v_fma_f64 v[118:119], s[10:11], v[172:173], v[122:123]
	v_add_f64 v[126:127], v[126:127], v[130:131]
	v_add_f64 v[218:219], v[110:111], -v[106:107]
	v_add_f64 v[198:199], v[112:113], v[96:97]
	v_mul_f64 v[130:131], v[220:221], s[20:21]
	v_fma_f64 v[142:143], v[200:201], s[14:15], -v[138:139]
	v_add_f64 v[148:149], v[148:149], v[152:153]
	v_fma_f64 v[116:117], s[6:7], v[170:171], v[120:121]
	v_add_f64 v[118:119], v[118:119], v[126:127]
	v_add_f64 v[196:197], v[108:109], v[104:105]
	v_mul_f64 v[126:127], v[218:219], s[48:49]
	v_fma_f64 v[134:135], v[198:199], s[10:11], -v[130:131]
	v_add_f64 v[142:143], v[142:143], v[148:149]
	v_add_f64 v[118:119], v[116:117], v[118:119]
	v_fma_f64 v[116:117], v[196:197], s[6:7], -v[126:127]
	v_add_f64 v[134:135], v[134:135], v[142:143]
	v_add_f64 v[116:117], v[116:117], v[134:135]
	v_fma_f64 v[134:135], v[184:185], s[22:23], -v[136:137]
	v_fma_f64 v[136:137], v[188:189], s[24:25], -v[140:141]
	;; [unrolled: 1-line block ×3, first 2 shown]
	v_add_f64 v[140:141], v[66:67], v[140:141]
	v_add_f64 v[136:137], v[136:137], v[140:141]
	v_fma_f64 v[132:133], v[180:181], s[18:19], -v[132:133]
	v_add_f64 v[134:135], v[134:135], v[136:137]
	v_fma_f64 v[128:129], v[176:177], s[16:17], -v[128:129]
	;; [unrolled: 2-line block ×4, first 2 shown]
	v_add_f64 v[124:125], v[124:125], v[128:129]
	v_accvgpr_write_b32 a10, v116
	v_fma_f64 v[120:121], v[170:171], s[6:7], -v[120:121]
	v_add_f64 v[122:123], v[122:123], v[124:125]
	v_fmac_f64_e32 v[162:163], s[28:29], v[212:213]
	v_accvgpr_write_b32 a11, v117
	v_accvgpr_write_b32 a12, v118
	;; [unrolled: 1-line block ×3, first 2 shown]
	v_add_f64 v[118:119], v[120:121], v[122:123]
	v_fmac_f64_e32 v[158:159], s[24:25], v[210:211]
	v_add_f64 v[120:121], v[64:65], v[162:163]
	v_fmac_f64_e32 v[154:155], s[22:23], v[208:209]
	v_add_f64 v[120:121], v[158:159], v[120:121]
	v_mul_f64 v[152:153], v[216:217], s[30:31]
	v_fmac_f64_e32 v[150:151], s[18:19], v[204:205]
	v_add_f64 v[120:121], v[154:155], v[120:121]
	s_mov_b32 s43, 0xbfefdd0d
	s_mov_b32 s42, s48
	v_mul_f64 v[148:149], v[214:215], s[36:37]
	v_fma_f64 v[154:155], s[22:23], v[192:193], v[152:153]
	v_mul_f64 v[238:239], v[232:233], s[30:31]
	v_fmac_f64_e32 v[146:147], s[16:17], v[202:203]
	v_add_f64 v[120:121], v[150:151], v[120:121]
	s_mov_b32 s55, 0x3fe9895b
	s_mov_b32 s54, s26
	v_mul_f64 v[144:145], v[206:207], s[42:43]
	v_fma_f64 v[150:151], s[14:15], v[188:189], v[148:149]
	v_add_f64 v[154:155], v[66:67], v[154:155]
	v_mul_f64 v[166:167], v[230:231], s[36:37]
	v_fma_f64 v[240:241], v[212:213], s[22:23], -v[238:239]
	v_add_f64 v[120:121], v[146:147], v[120:121]
	s_mov_b32 s41, 0xbfd71e95
	s_mov_b32 s40, s38
	v_mul_f64 v[140:141], v[194:195], s[54:55]
	v_fma_f64 v[146:147], s[6:7], v[184:185], v[144:145]
	v_add_f64 v[150:151], v[150:151], v[154:155]
	v_mul_f64 v[162:163], v[228:229], s[42:43]
	v_fma_f64 v[236:237], v[210:211], s[14:15], -v[166:167]
	v_add_f64 v[240:241], v[64:65], v[240:241]
	v_fmac_f64_e32 v[138:139], s[14:15], v[200:201]
	v_mul_f64 v[136:137], v[190:191], s[40:41]
	v_fma_f64 v[142:143], s[16:17], v[180:181], v[140:141]
	v_add_f64 v[146:147], v[146:147], v[150:151]
	v_mul_f64 v[158:159], v[226:227], s[54:55]
	v_fma_f64 v[164:165], v[208:209], s[6:7], -v[162:163]
	v_add_f64 v[236:237], v[236:237], v[240:241]
	v_fmac_f64_e32 v[130:131], s[10:11], v[198:199]
	v_add_f64 v[120:121], v[138:139], v[120:121]
	v_mul_f64 v[132:133], v[186:187], s[34:35]
	v_fma_f64 v[138:139], s[24:25], v[176:177], v[136:137]
	v_add_f64 v[142:143], v[142:143], v[146:147]
	v_mul_f64 v[154:155], v[224:225], s[40:41]
	v_fma_f64 v[160:161], v[204:205], s[16:17], -v[158:159]
	v_add_f64 v[164:165], v[164:165], v[236:237]
	v_fmac_f64_e32 v[126:127], s[6:7], v[196:197]
	v_add_f64 v[120:121], v[130:131], v[120:121]
	v_mul_f64 v[130:131], v[182:183], s[44:45]
	v_fma_f64 v[134:135], s[28:29], v[174:175], v[132:133]
	v_add_f64 v[138:139], v[138:139], v[142:143]
	v_mul_f64 v[146:147], v[222:223], s[34:35]
	v_fma_f64 v[156:157], v[202:203], s[24:25], -v[154:155]
	v_add_f64 v[160:161], v[160:161], v[164:165]
	v_add_f64 v[116:117], v[126:127], v[120:121]
	v_mul_f64 v[128:129], v[178:179], s[20:21]
	v_fma_f64 v[126:127], s[18:19], v[172:173], v[130:131]
	v_add_f64 v[134:135], v[134:135], v[138:139]
	v_mul_f64 v[138:139], v[220:221], s[44:45]
	v_fma_f64 v[150:151], v[200:201], s[28:29], -v[146:147]
	v_add_f64 v[156:157], v[156:157], v[160:161]
	v_accvgpr_write_b32 a14, v116
	v_fma_f64 v[124:125], s[10:11], v[170:171], v[128:129]
	v_add_f64 v[126:127], v[126:127], v[134:135]
	v_mul_f64 v[134:135], v[218:219], s[20:21]
	v_fma_f64 v[142:143], v[198:199], s[18:19], -v[138:139]
	v_add_f64 v[150:151], v[150:151], v[156:157]
	v_accvgpr_write_b32 a15, v117
	v_accvgpr_write_b32 a16, v118
	v_accvgpr_write_b32 a17, v119
	v_add_f64 v[118:119], v[124:125], v[126:127]
	v_fma_f64 v[124:125], v[196:197], s[10:11], -v[134:135]
	v_add_f64 v[142:143], v[142:143], v[150:151]
	v_add_f64 v[116:117], v[124:125], v[142:143]
	v_fma_f64 v[142:143], v[184:185], s[6:7], -v[144:145]
	v_fma_f64 v[144:145], v[188:189], s[14:15], -v[148:149]
	;; [unrolled: 1-line block ×3, first 2 shown]
	v_add_f64 v[148:149], v[66:67], v[148:149]
	v_add_f64 v[144:145], v[144:145], v[148:149]
	v_fma_f64 v[140:141], v[180:181], s[16:17], -v[140:141]
	v_add_f64 v[142:143], v[142:143], v[144:145]
	v_fma_f64 v[136:137], v[176:177], s[24:25], -v[136:137]
	;; [unrolled: 2-line block ×4, first 2 shown]
	v_add_f64 v[132:133], v[132:133], v[136:137]
	v_accvgpr_write_b32 a22, v116
	v_fma_f64 v[128:129], v[170:171], s[10:11], -v[128:129]
	v_add_f64 v[130:131], v[130:131], v[132:133]
	v_fmac_f64_e32 v[238:239], s[22:23], v[212:213]
	v_accvgpr_write_b32 a23, v117
	v_accvgpr_write_b32 a24, v118
	;; [unrolled: 1-line block ×3, first 2 shown]
	v_add_f64 v[118:119], v[128:129], v[130:131]
	v_fmac_f64_e32 v[166:167], s[14:15], v[210:211]
	v_add_f64 v[128:129], v[64:65], v[238:239]
	v_fmac_f64_e32 v[162:163], s[6:7], v[208:209]
	v_add_f64 v[128:129], v[166:167], v[128:129]
	s_mov_b32 s53, 0x3feec746
	s_mov_b32 s52, s20
	v_mul_f64 v[160:161], v[216:217], s[26:27]
	v_fmac_f64_e32 v[158:159], s[16:17], v[204:205]
	v_add_f64 v[128:129], v[162:163], v[128:129]
	v_mul_f64 v[156:157], v[214:215], s[52:53]
	v_fma_f64 v[162:163], s[16:17], v[192:193], v[160:161]
	v_mul_f64 v[246:247], v[232:233], s[26:27]
	v_fmac_f64_e32 v[154:155], s[24:25], v[202:203]
	v_add_f64 v[128:129], v[158:159], v[128:129]
	v_mul_f64 v[152:153], v[206:207], s[40:41]
	v_fma_f64 v[158:159], s[10:11], v[188:189], v[156:157]
	v_add_f64 v[162:163], v[66:67], v[162:163]
	v_mul_f64 v[242:243], v[230:231], s[52:53]
	v_fma_f64 v[248:249], v[212:213], s[16:17], -v[246:247]
	v_add_f64 v[128:129], v[154:155], v[128:129]
	v_mul_f64 v[148:149], v[194:195], s[30:31]
	v_fma_f64 v[154:155], s[24:25], v[184:185], v[152:153]
	v_add_f64 v[158:159], v[158:159], v[162:163]
	v_mul_f64 v[238:239], v[228:229], s[40:41]
	v_fma_f64 v[244:245], v[210:211], s[10:11], -v[242:243]
	v_add_f64 v[248:249], v[64:65], v[248:249]
	v_fmac_f64_e32 v[146:147], s[28:29], v[200:201]
	s_mov_b32 s47, 0xbfe58eea
	s_mov_b32 s46, s44
	v_mul_f64 v[144:145], v[190:191], s[48:49]
	v_fma_f64 v[150:151], s[22:23], v[180:181], v[148:149]
	v_add_f64 v[154:155], v[154:155], v[158:159]
	v_mul_f64 v[166:167], v[226:227], s[30:31]
	v_fma_f64 v[240:241], v[208:209], s[24:25], -v[238:239]
	v_add_f64 v[244:245], v[244:245], v[248:249]
	v_fmac_f64_e32 v[138:139], s[18:19], v[198:199]
	v_add_f64 v[128:129], v[146:147], v[128:129]
	v_mul_f64 v[140:141], v[186:187], s[46:47]
	v_fma_f64 v[146:147], s[6:7], v[176:177], v[144:145]
	v_add_f64 v[150:151], v[150:151], v[154:155]
	v_mul_f64 v[162:163], v[224:225], s[48:49]
	v_fma_f64 v[236:237], v[204:205], s[22:23], -v[166:167]
	v_add_f64 v[240:241], v[240:241], v[244:245]
	v_fmac_f64_e32 v[134:135], s[10:11], v[196:197]
	v_add_f64 v[128:129], v[138:139], v[128:129]
	v_mul_f64 v[138:139], v[182:183], s[34:35]
	v_fma_f64 v[142:143], s[18:19], v[174:175], v[140:141]
	v_add_f64 v[146:147], v[146:147], v[150:151]
	v_mul_f64 v[154:155], v[222:223], s[46:47]
	v_fma_f64 v[164:165], v[202:203], s[6:7], -v[162:163]
	v_add_f64 v[236:237], v[236:237], v[240:241]
	v_add_f64 v[116:117], v[134:135], v[128:129]
	v_mul_f64 v[136:137], v[178:179], s[36:37]
	v_fma_f64 v[134:135], s[28:29], v[172:173], v[138:139]
	v_add_f64 v[142:143], v[142:143], v[146:147]
	v_mul_f64 v[146:147], v[220:221], s[34:35]
	v_fma_f64 v[158:159], v[200:201], s[18:19], -v[154:155]
	v_add_f64 v[164:165], v[164:165], v[236:237]
	v_fma_f64 v[132:133], s[14:15], v[170:171], v[136:137]
	v_add_f64 v[134:135], v[134:135], v[142:143]
	v_mul_f64 v[142:143], v[218:219], s[36:37]
	v_fma_f64 v[150:151], v[198:199], s[28:29], -v[146:147]
	v_add_f64 v[158:159], v[158:159], v[164:165]
	v_add_f64 v[134:135], v[132:133], v[134:135]
	v_fma_f64 v[132:133], v[196:197], s[14:15], -v[142:143]
	v_add_f64 v[150:151], v[150:151], v[158:159]
	v_add_f64 v[132:133], v[132:133], v[150:151]
	v_fma_f64 v[150:151], v[184:185], s[24:25], -v[152:153]
	v_fma_f64 v[152:153], v[188:189], s[10:11], -v[156:157]
	;; [unrolled: 1-line block ×3, first 2 shown]
	v_add_f64 v[156:157], v[66:67], v[156:157]
	v_add_f64 v[152:153], v[152:153], v[156:157]
	v_fma_f64 v[148:149], v[180:181], s[22:23], -v[148:149]
	v_add_f64 v[150:151], v[150:151], v[152:153]
	v_fma_f64 v[144:145], v[176:177], s[6:7], -v[144:145]
	;; [unrolled: 2-line block ×5, first 2 shown]
	v_add_f64 v[138:139], v[138:139], v[140:141]
	v_fmac_f64_e32 v[246:247], s[16:17], v[212:213]
	v_add_f64 v[138:139], v[136:137], v[138:139]
	v_fmac_f64_e32 v[242:243], s[10:11], v[210:211]
	;; [unrolled: 2-line block ×3, first 2 shown]
	v_add_f64 v[136:137], v[242:243], v[136:137]
	s_mov_b32 s57, 0x3fe0d888
	s_mov_b32 s56, s30
	v_mul_f64 v[236:237], v[216:217], s[20:21]
	v_accvgpr_write_b32 a26, v116
	v_fmac_f64_e32 v[166:167], s[22:23], v[204:205]
	v_add_f64 v[136:137], v[238:239], v[136:137]
	v_mul_f64 v[164:165], v[214:215], s[56:57]
	v_fma_f64 v[238:239], s[10:11], v[192:193], v[236:237]
	v_mul_f64 v[254:255], v[232:233], s[20:21]
	v_accvgpr_write_b32 a27, v117
	v_accvgpr_write_b32 a28, v118
	;; [unrolled: 1-line block ×3, first 2 shown]
	v_fmac_f64_e32 v[162:163], s[6:7], v[202:203]
	v_add_f64 v[136:137], v[166:167], v[136:137]
	s_mov_b32 s51, 0xbfeca52d
	s_mov_b32 s50, s36
	v_mul_f64 v[160:161], v[206:207], s[44:45]
	v_fma_f64 v[166:167], s[22:23], v[188:189], v[164:165]
	v_add_f64 v[238:239], v[66:67], v[238:239]
	v_mul_f64 v[250:251], v[230:231], s[56:57]
	v_fma_f64 v[116:117], v[212:213], s[10:11], -v[254:255]
	v_add_f64 v[136:137], v[162:163], v[136:137]
	v_mul_f64 v[156:157], v[194:195], s[50:51]
	v_fma_f64 v[162:163], s[18:19], v[184:185], v[160:161]
	v_add_f64 v[166:167], v[166:167], v[238:239]
	v_mul_f64 v[246:247], v[228:229], s[44:45]
	v_fma_f64 v[252:253], v[210:211], s[22:23], -v[250:251]
	v_add_f64 v[116:117], v[64:65], v[116:117]
	v_fmac_f64_e32 v[154:155], s[18:19], v[200:201]
	v_mul_f64 v[152:153], v[190:191], s[34:35]
	v_fma_f64 v[158:159], s[14:15], v[180:181], v[156:157]
	v_add_f64 v[162:163], v[162:163], v[166:167]
	v_mul_f64 v[242:243], v[226:227], s[50:51]
	v_fma_f64 v[248:249], v[208:209], s[18:19], -v[246:247]
	v_add_f64 v[116:117], v[252:253], v[116:117]
	v_fmac_f64_e32 v[146:147], s[28:29], v[198:199]
	v_add_f64 v[136:137], v[154:155], v[136:137]
	v_mul_f64 v[148:149], v[186:187], s[48:49]
	v_fma_f64 v[154:155], s[28:29], v[176:177], v[152:153]
	v_add_f64 v[158:159], v[158:159], v[162:163]
	v_mul_f64 v[238:239], v[224:225], s[34:35]
	v_fma_f64 v[244:245], v[204:205], s[14:15], -v[242:243]
	v_add_f64 v[116:117], v[248:249], v[116:117]
	v_fmac_f64_e32 v[142:143], s[14:15], v[196:197]
	v_add_f64 v[136:137], v[146:147], v[136:137]
	v_mul_f64 v[146:147], v[182:183], s[40:41]
	v_fma_f64 v[150:151], s[6:7], v[174:175], v[148:149]
	v_add_f64 v[154:155], v[154:155], v[158:159]
	v_mul_f64 v[162:163], v[222:223], s[48:49]
	v_fma_f64 v[240:241], v[202:203], s[28:29], -v[238:239]
	v_add_f64 v[116:117], v[244:245], v[116:117]
	v_add_f64 v[136:137], v[142:143], v[136:137]
	v_mul_f64 v[144:145], v[178:179], s[26:27]
	v_fma_f64 v[142:143], s[24:25], v[172:173], v[146:147]
	v_add_f64 v[150:151], v[150:151], v[154:155]
	v_mul_f64 v[154:155], v[220:221], s[40:41]
	v_fma_f64 v[166:167], v[200:201], s[6:7], -v[162:163]
	v_add_f64 v[116:117], v[240:241], v[116:117]
	v_fma_f64 v[140:141], s[16:17], v[170:171], v[144:145]
	v_add_f64 v[142:143], v[142:143], v[150:151]
	v_mul_f64 v[150:151], v[218:219], s[26:27]
	v_fma_f64 v[158:159], v[198:199], s[24:25], -v[154:155]
	v_add_f64 v[116:117], v[166:167], v[116:117]
	v_add_f64 v[142:143], v[140:141], v[142:143]
	v_fma_f64 v[140:141], v[196:197], s[16:17], -v[150:151]
	v_add_f64 v[116:117], v[158:159], v[116:117]
	v_fma_f64 v[158:159], v[192:193], s[10:11], -v[236:237]
	;; [unrolled: 2-line block ×3, first 2 shown]
	v_fma_f64 v[144:145], v[174:175], s[6:7], -v[148:149]
	v_fma_f64 v[148:149], v[180:181], s[14:15], -v[156:157]
	;; [unrolled: 1-line block ×3, first 2 shown]
	v_add_f64 v[158:159], v[66:67], v[158:159]
	v_fma_f64 v[118:119], v[172:173], s[24:25], -v[146:147]
	v_fma_f64 v[146:147], v[176:177], s[28:29], -v[152:153]
	;; [unrolled: 1-line block ×3, first 2 shown]
	v_add_f64 v[156:157], v[156:157], v[158:159]
	v_add_f64 v[152:153], v[152:153], v[156:157]
	;; [unrolled: 1-line block ×6, first 2 shown]
	v_fmac_f64_e32 v[254:255], s[10:11], v[212:213]
	v_add_f64 v[146:147], v[116:117], v[118:119]
	v_fmac_f64_e32 v[250:251], s[22:23], v[210:211]
	v_add_f64 v[116:117], v[64:65], v[254:255]
	;; [unrolled: 2-line block ×4, first 2 shown]
	v_mul_f64 v[240:241], v[216:217], s[42:43]
	v_accvgpr_write_b32 a2, v16
	v_fmac_f64_e32 v[238:239], s[28:29], v[202:203]
	v_add_f64 v[116:117], v[242:243], v[116:117]
	v_mul_f64 v[236:237], v[214:215], s[34:35]
	v_fma_f64 v[242:243], s[6:7], v[192:193], v[240:241]
	v_accvgpr_write_b32 a3, v17
	v_accvgpr_write_b32 a4, v18
	;; [unrolled: 1-line block ×3, first 2 shown]
	v_mov_b64_e32 v[18:19], v[4:5]
	v_add_f64 v[116:117], v[238:239], v[116:117]
	v_mul_f64 v[164:165], v[206:207], s[52:53]
	v_fma_f64 v[238:239], s[28:29], v[188:189], v[236:237]
	v_add_f64 v[242:243], v[66:67], v[242:243]
	v_mov_b64_e32 v[16:17], v[2:3]
	v_mul_f64 v[2:3], v[232:233], s[42:43]
	v_fmac_f64_e32 v[162:163], s[6:7], v[200:201]
	v_mul_f64 v[160:161], v[194:195], s[38:39]
	v_fma_f64 v[166:167], s[10:11], v[184:185], v[164:165]
	v_add_f64 v[238:239], v[238:239], v[242:243]
	v_mul_f64 v[254:255], v[230:231], s[34:35]
	v_fma_f64 v[120:121], v[212:213], s[6:7], -v[2:3]
	v_fmac_f64_e32 v[154:155], s[24:25], v[198:199]
	v_add_f64 v[116:117], v[162:163], v[116:117]
	v_mul_f64 v[156:157], v[190:191], s[50:51]
	v_fma_f64 v[162:163], s[24:25], v[180:181], v[160:161]
	v_add_f64 v[166:167], v[166:167], v[238:239]
	v_mul_f64 v[250:251], v[228:229], s[52:53]
	v_fma_f64 v[0:1], v[210:211], s[28:29], -v[254:255]
	v_add_f64 v[120:121], v[64:65], v[120:121]
	v_fmac_f64_e32 v[150:151], s[16:17], v[196:197]
	v_add_f64 v[116:117], v[154:155], v[116:117]
	v_mul_f64 v[154:155], v[186:187], s[30:31]
	v_fma_f64 v[158:159], s[14:15], v[176:177], v[156:157]
	v_add_f64 v[162:163], v[162:163], v[166:167]
	v_mul_f64 v[246:247], v[226:227], s[38:39]
	v_fma_f64 v[252:253], v[208:209], s[10:11], -v[250:251]
	v_add_f64 v[0:1], v[0:1], v[120:121]
	v_add_f64 v[144:145], v[150:151], v[116:117]
	v_mul_f64 v[152:153], v[182:183], s[54:55]
	v_fma_f64 v[150:151], s[22:23], v[174:175], v[154:155]
	v_add_f64 v[158:159], v[158:159], v[162:163]
	v_mul_f64 v[242:243], v[224:225], s[50:51]
	v_fma_f64 v[248:249], v[204:205], s[24:25], -v[246:247]
	v_add_f64 v[0:1], v[252:253], v[0:1]
	v_mul_f64 v[116:117], v[178:179], s[44:45]
	v_fma_f64 v[148:149], s[16:17], v[172:173], v[152:153]
	v_add_f64 v[150:151], v[150:151], v[158:159]
	v_mul_f64 v[166:167], v[222:223], s[30:31]
	v_fma_f64 v[244:245], v[202:203], s[14:15], -v[242:243]
	v_add_f64 v[0:1], v[248:249], v[0:1]
	v_fma_f64 v[118:119], s[18:19], v[170:171], v[116:117]
	v_add_f64 v[148:149], v[148:149], v[150:151]
	v_mul_f64 v[158:159], v[220:221], s[54:55]
	v_fma_f64 v[238:239], v[200:201], s[22:23], -v[166:167]
	v_add_f64 v[0:1], v[244:245], v[0:1]
	v_add_f64 v[150:151], v[118:119], v[148:149]
	v_mul_f64 v[118:119], v[218:219], s[44:45]
	v_fma_f64 v[162:163], v[198:199], s[16:17], -v[158:159]
	v_add_f64 v[0:1], v[238:239], v[0:1]
	v_fma_f64 v[148:149], v[196:197], s[18:19], -v[118:119]
	v_add_f64 v[0:1], v[162:163], v[0:1]
	v_add_f64 v[148:149], v[148:149], v[0:1]
	v_fma_f64 v[0:1], v[170:171], s[18:19], -v[116:117]
	v_fma_f64 v[116:117], v[172:173], s[16:17], -v[152:153]
	;; [unrolled: 1-line block ×6, first 2 shown]
	v_add_f64 v[160:161], v[66:67], v[160:161]
	v_fma_f64 v[120:121], v[174:175], s[22:23], -v[154:155]
	v_fma_f64 v[154:155], v[184:185], s[10:11], -v[164:165]
	v_add_f64 v[156:157], v[156:157], v[160:161]
	v_add_f64 v[154:155], v[154:155], v[156:157]
	;; [unrolled: 1-line block ×6, first 2 shown]
	v_fmac_f64_e32 v[2:3], s[6:7], v[212:213]
	v_add_f64 v[154:155], v[0:1], v[116:117]
	v_fmac_f64_e32 v[254:255], s[28:29], v[210:211]
	v_add_f64 v[0:1], v[64:65], v[2:3]
	;; [unrolled: 2-line block ×5, first 2 shown]
	v_mul_f64 v[240:241], v[216:217], s[50:51]
	v_accvgpr_write_b32 a6, v20
	v_add_f64 v[0:1], v[242:243], v[0:1]
	s_mov_b32 s49, 0x3fc7851a
	s_mov_b32 s48, s34
	v_mul_f64 v[236:237], v[214:215], s[26:27]
	v_fma_f64 v[242:243], s[14:15], v[192:193], v[240:241]
	v_accvgpr_write_b32 a7, v21
	v_accvgpr_write_b32 a8, v22
	;; [unrolled: 1-line block ×3, first 2 shown]
	v_mov_b64_e32 v[22:23], v[8:9]
	v_fmac_f64_e32 v[166:167], s[22:23], v[200:201]
	v_mul_f64 v[164:165], v[206:207], s[48:49]
	v_fma_f64 v[238:239], s[16:17], v[188:189], v[236:237]
	v_add_f64 v[242:243], v[66:67], v[242:243]
	v_mov_b64_e32 v[20:21], v[6:7]
	v_mul_f64 v[6:7], v[232:233], s[50:51]
	v_fmac_f64_e32 v[158:159], s[16:17], v[198:199]
	v_add_f64 v[0:1], v[166:167], v[0:1]
	v_mul_f64 v[162:163], v[194:195], s[52:53]
	v_fma_f64 v[166:167], s[28:29], v[184:185], v[164:165]
	v_add_f64 v[238:239], v[238:239], v[242:243]
	v_mul_f64 v[254:255], v[230:231], s[26:27]
	v_fma_f64 v[124:125], v[212:213], s[14:15], -v[6:7]
	v_add_f64 v[0:1], v[158:159], v[0:1]
	v_mul_f64 v[160:161], v[190:191], s[44:45]
	v_fma_f64 v[158:159], s[10:11], v[180:181], v[162:163]
	v_add_f64 v[166:167], v[166:167], v[238:239]
	v_mul_f64 v[250:251], v[228:229], s[48:49]
	v_fma_f64 v[4:5], v[210:211], s[16:17], -v[254:255]
	v_add_f64 v[124:125], v[64:65], v[124:125]
	v_mul_f64 v[120:121], v[186:187], s[40:41]
	v_fma_f64 v[156:157], s[18:19], v[176:177], v[160:161]
	v_add_f64 v[158:159], v[158:159], v[166:167]
	v_mul_f64 v[246:247], v[226:227], s[52:53]
	v_fma_f64 v[252:253], v[208:209], s[28:29], -v[250:251]
	v_add_f64 v[4:5], v[4:5], v[124:125]
	v_fmac_f64_e32 v[118:119], s[18:19], v[196:197]
	v_mul_f64 v[116:117], v[182:183], s[42:43]
	v_fma_f64 v[122:123], s[24:25], v[174:175], v[120:121]
	v_add_f64 v[156:157], v[156:157], v[158:159]
	v_mul_f64 v[242:243], v[224:225], s[44:45]
	v_fma_f64 v[248:249], v[204:205], s[10:11], -v[246:247]
	v_add_f64 v[4:5], v[252:253], v[4:5]
	v_add_f64 v[152:153], v[118:119], v[0:1]
	v_mul_f64 v[0:1], v[178:179], s[30:31]
	v_fma_f64 v[118:119], s[6:7], v[172:173], v[116:117]
	v_add_f64 v[122:123], v[122:123], v[156:157]
	v_mul_f64 v[238:239], v[222:223], s[40:41]
	v_fma_f64 v[244:245], v[202:203], s[18:19], -v[242:243]
	v_add_f64 v[4:5], v[248:249], v[4:5]
	v_fma_f64 v[2:3], s[22:23], v[170:171], v[0:1]
	v_add_f64 v[118:119], v[118:119], v[122:123]
	v_mul_f64 v[122:123], v[220:221], s[42:43]
	v_fma_f64 v[166:167], v[200:201], s[24:25], -v[238:239]
	v_add_f64 v[4:5], v[244:245], v[4:5]
	v_add_f64 v[158:159], v[2:3], v[118:119]
	v_mul_f64 v[2:3], v[218:219], s[30:31]
	v_fma_f64 v[156:157], v[198:199], s[6:7], -v[122:123]
	v_add_f64 v[4:5], v[166:167], v[4:5]
	v_fma_f64 v[118:119], v[196:197], s[22:23], -v[2:3]
	v_add_f64 v[4:5], v[156:157], v[4:5]
	v_add_f64 v[156:157], v[118:119], v[4:5]
	v_fma_f64 v[118:119], v[176:177], s[18:19], -v[160:161]
	v_fma_f64 v[160:161], v[192:193], s[14:15], -v[240:241]
	;; [unrolled: 1-line block ×3, first 2 shown]
	v_add_f64 v[160:161], v[66:67], v[160:161]
	v_fma_f64 v[124:125], v[184:185], s[28:29], -v[164:165]
	v_add_f64 v[126:127], v[126:127], v[160:161]
	v_fma_f64 v[4:5], v[172:173], s[6:7], -v[116:117]
	v_fma_f64 v[116:117], v[174:175], s[24:25], -v[120:121]
	;; [unrolled: 1-line block ×3, first 2 shown]
	v_add_f64 v[124:125], v[124:125], v[126:127]
	v_add_f64 v[120:121], v[120:121], v[124:125]
	;; [unrolled: 1-line block ×4, first 2 shown]
	v_fma_f64 v[0:1], v[170:171], s[22:23], -v[0:1]
	v_add_f64 v[4:5], v[4:5], v[116:117]
	v_fmac_f64_e32 v[6:7], s[14:15], v[212:213]
	v_add_f64 v[166:167], v[0:1], v[4:5]
	v_fmac_f64_e32 v[254:255], s[16:17], v[210:211]
	;; [unrolled: 2-line block ×6, first 2 shown]
	v_add_f64 v[0:1], v[242:243], v[0:1]
	v_mul_f64 v[240:241], v[216:217], s[46:47]
	v_add_f64 v[0:1], v[238:239], v[0:1]
	v_mul_f64 v[238:239], v[214:215], s[42:43]
	v_fma_f64 v[242:243], s[18:19], v[192:193], v[240:241]
	v_mul_f64 v[236:237], v[206:207], s[26:27]
	v_fma_f64 v[162:163], s[6:7], v[188:189], v[238:239]
	v_add_f64 v[242:243], v[66:67], v[242:243]
	v_mul_f64 v[10:11], v[232:233], s[46:47]
	v_mul_f64 v[124:125], v[194:195], s[34:35]
	v_fma_f64 v[160:161], s[16:17], v[184:185], v[236:237]
	v_add_f64 v[162:163], v[162:163], v[242:243]
	v_mul_f64 v[254:255], v[230:231], s[42:43]
	v_fma_f64 v[128:129], v[212:213], s[18:19], -v[10:11]
	v_fmac_f64_e32 v[122:123], s[6:7], v[198:199]
	v_mul_f64 v[120:121], v[190:191], s[56:57]
	v_fma_f64 v[126:127], s[28:29], v[180:181], v[124:125]
	v_add_f64 v[160:161], v[160:161], v[162:163]
	v_mul_f64 v[250:251], v[228:229], s[26:27]
	v_fma_f64 v[8:9], v[210:211], s[6:7], -v[254:255]
	v_add_f64 v[128:129], v[64:65], v[128:129]
	v_add_f64 v[0:1], v[122:123], v[0:1]
	v_mul_f64 v[116:117], v[186:187], s[52:53]
	v_fma_f64 v[122:123], s[22:23], v[176:177], v[120:121]
	v_add_f64 v[126:127], v[126:127], v[160:161]
	v_mul_f64 v[246:247], v[226:227], s[34:35]
	v_fma_f64 v[252:253], v[208:209], s[16:17], -v[250:251]
	v_add_f64 v[8:9], v[8:9], v[128:129]
	v_fmac_f64_e32 v[2:3], s[22:23], v[196:197]
	v_mul_f64 v[4:5], v[182:183], s[36:37]
	v_fma_f64 v[118:119], s[10:11], v[174:175], v[116:117]
	v_add_f64 v[122:123], v[122:123], v[126:127]
	v_mul_f64 v[242:243], v[224:225], s[56:57]
	v_fma_f64 v[248:249], v[204:205], s[28:29], -v[246:247]
	v_add_f64 v[8:9], v[252:253], v[8:9]
	v_add_f64 v[164:165], v[2:3], v[0:1]
	v_mul_f64 v[0:1], v[178:179], s[38:39]
	v_fma_f64 v[6:7], s[14:15], v[172:173], v[4:5]
	v_add_f64 v[118:119], v[118:119], v[122:123]
	v_mul_f64 v[126:127], v[222:223], s[52:53]
	v_fma_f64 v[244:245], v[202:203], s[22:23], -v[242:243]
	v_add_f64 v[8:9], v[248:249], v[8:9]
	v_fma_f64 v[2:3], s[24:25], v[170:171], v[0:1]
	v_add_f64 v[6:7], v[6:7], v[118:119]
	v_mul_f64 v[118:119], v[220:221], s[36:37]
	v_fma_f64 v[160:161], v[200:201], s[10:11], -v[126:127]
	v_add_f64 v[8:9], v[244:245], v[8:9]
	v_add_f64 v[162:163], v[2:3], v[6:7]
	v_mul_f64 v[2:3], v[218:219], s[38:39]
	v_fma_f64 v[122:123], v[198:199], s[14:15], -v[118:119]
	v_add_f64 v[8:9], v[160:161], v[8:9]
	v_fma_f64 v[6:7], v[196:197], s[24:25], -v[2:3]
	v_add_f64 v[8:9], v[122:123], v[8:9]
	v_add_f64 v[160:161], v[6:7], v[8:9]
	v_fma_f64 v[6:7], v[174:175], s[10:11], -v[116:117]
	v_fma_f64 v[116:117], v[180:181], s[28:29], -v[124:125]
	;; [unrolled: 1-line block ×4, first 2 shown]
	v_add_f64 v[124:125], v[66:67], v[124:125]
	v_fma_f64 v[8:9], v[176:177], s[22:23], -v[120:121]
	v_fma_f64 v[120:121], v[184:185], s[16:17], -v[236:237]
	v_add_f64 v[122:123], v[122:123], v[124:125]
	v_add_f64 v[120:121], v[120:121], v[122:123]
	;; [unrolled: 1-line block ×4, first 2 shown]
	v_fma_f64 v[4:5], v[172:173], s[14:15], -v[4:5]
	v_add_f64 v[6:7], v[6:7], v[8:9]
	v_fma_f64 v[0:1], v[170:171], s[24:25], -v[0:1]
	v_add_f64 v[4:5], v[4:5], v[6:7]
	v_fmac_f64_e32 v[10:11], s[18:19], v[212:213]
	v_add_f64 v[238:239], v[0:1], v[4:5]
	v_fmac_f64_e32 v[254:255], s[6:7], v[210:211]
	;; [unrolled: 2-line block ×8, first 2 shown]
	v_add_f64 v[0:1], v[118:119], v[0:1]
	v_add_f64 v[236:237], v[2:3], v[0:1]
	v_mul_f64 v[0:1], v[178:179], s[34:35]
	v_mul_f64 v[178:179], v[216:217], s[40:41]
	v_mul_f64 v[4:5], v[182:183], s[30:31]
	v_mul_f64 v[128:129], v[214:215], s[46:47]
	v_fma_f64 v[182:183], s[24:25], v[192:193], v[178:179]
	v_mul_f64 v[124:125], v[206:207], s[50:51]
	v_fma_f64 v[130:131], s[18:19], v[188:189], v[128:129]
	v_add_f64 v[182:183], v[66:67], v[182:183]
	v_mul_f64 v[120:121], v[194:195], s[42:43]
	v_fma_f64 v[126:127], s[14:15], v[184:185], v[124:125]
	v_add_f64 v[130:131], v[130:131], v[182:183]
	;; [unrolled: 3-line block ×4, first 2 shown]
	v_fma_f64 v[10:11], s[16:17], v[174:175], v[8:9]
	v_add_f64 v[118:119], v[118:119], v[122:123]
	v_fma_f64 v[6:7], s[22:23], v[172:173], v[4:5]
	v_add_f64 v[10:11], v[10:11], v[118:119]
	;; [unrolled: 2-line block ×3, first 2 shown]
	v_mul_f64 v[10:11], v[220:221], s[30:31]
	v_mul_f64 v[220:221], v[232:233], s[40:41]
	v_add_f64 v[216:217], v[2:3], v[6:7]
	v_mul_f64 v[2:3], v[218:219], s[34:35]
	v_mul_f64 v[122:123], v[222:223], s[26:27]
	;; [unrolled: 1-line block ×3, first 2 shown]
	v_fma_f64 v[222:223], v[212:213], s[24:25], -v[220:221]
	v_mul_f64 v[194:195], v[228:229], s[50:51]
	v_fma_f64 v[214:215], v[210:211], s[18:19], -v[218:219]
	v_add_f64 v[222:223], v[64:65], v[222:223]
	v_mul_f64 v[186:187], v[226:227], s[42:43]
	v_fma_f64 v[206:207], v[208:209], s[14:15], -v[194:195]
	v_add_f64 v[214:215], v[214:215], v[222:223]
	;; [unrolled: 3-line block ×3, first 2 shown]
	v_fma_f64 v[182:183], v[202:203], s[10:11], -v[130:131]
	v_add_f64 v[190:191], v[190:191], v[206:207]
	v_fma_f64 v[126:127], v[200:201], s[16:17], -v[122:123]
	v_add_f64 v[182:183], v[182:183], v[190:191]
	v_fma_f64 v[118:119], v[198:199], s[22:23], -v[10:11]
	v_add_f64 v[126:127], v[126:127], v[182:183]
	v_fma_f64 v[6:7], v[196:197], s[28:29], -v[2:3]
	v_add_f64 v[118:119], v[118:119], v[126:127]
	v_add_f64 v[214:215], v[6:7], v[118:119]
	v_fma_f64 v[118:119], v[184:185], s[14:15], -v[124:125]
	v_fma_f64 v[124:125], v[192:193], s[24:25], -v[178:179]
	v_fma_f64 v[6:7], v[174:175], s[16:17], -v[8:9]
	v_fma_f64 v[8:9], v[176:177], s[10:11], -v[116:117]
	v_fma_f64 v[116:117], v[180:181], s[6:7], -v[120:121]
	v_fma_f64 v[120:121], v[188:189], s[18:19], -v[128:129]
	v_add_f64 v[124:125], v[66:67], v[124:125]
	v_add_f64 v[120:121], v[120:121], v[124:125]
	;; [unrolled: 1-line block ×5, first 2 shown]
	v_fma_f64 v[4:5], v[172:173], s[22:23], -v[4:5]
	v_add_f64 v[6:7], v[6:7], v[8:9]
	v_fma_f64 v[0:1], v[170:171], s[28:29], -v[0:1]
	v_add_f64 v[4:5], v[4:5], v[6:7]
	v_fmac_f64_e32 v[220:221], s[24:25], v[212:213]
	v_add_f64 v[172:173], v[0:1], v[4:5]
	v_fmac_f64_e32 v[218:219], s[18:19], v[210:211]
	;; [unrolled: 2-line block ×8, first 2 shown]
	v_add_f64 v[0:1], v[10:11], v[0:1]
	v_add_f64 v[170:171], v[2:3], v[0:1]
	;; [unrolled: 1-line block ×13, first 2 shown]
	v_accvgpr_read_b32 v4, a18
	v_add_f64 v[0:1], v[0:1], v[90:91]
	v_accvgpr_read_b32 v6, a20
	v_accvgpr_read_b32 v7, a21
	v_add_f64 v[0:1], v[0:1], v[6:7]
	v_add_f64 v[0:1], v[0:1], v[22:23]
	v_add_f64 v[0:1], v[0:1], v[18:19]
	v_add_f64 v[2:3], v[0:1], v[14:15]
	v_add_f64 v[0:1], v[64:65], v[68:69]
	v_add_f64 v[0:1], v[0:1], v[72:73]
	v_add_f64 v[0:1], v[0:1], v[76:77]
	v_add_f64 v[0:1], v[0:1], v[80:81]
	v_add_f64 v[0:1], v[0:1], v[84:85]
	v_add_f64 v[0:1], v[0:1], v[100:101]
	v_add_f64 v[0:1], v[0:1], v[112:113]
	v_add_f64 v[0:1], v[0:1], v[108:109]
	v_add_f64 v[0:1], v[0:1], v[104:105]
	v_add_f64 v[0:1], v[0:1], v[96:97]
	v_add_f64 v[0:1], v[0:1], v[92:93]
	v_accvgpr_read_b32 v5, a19
	v_add_f64 v[0:1], v[0:1], v[88:89]
	v_add_f64 v[0:1], v[0:1], v[4:5]
	v_accvgpr_read_b32 v194, a0
	v_add_f64 v[0:1], v[0:1], v[20:21]
	v_accvgpr_read_b32 v23, a9
	;; [unrolled: 2-line block ×3, first 2 shown]
	v_mul_lo_u16_e32 v4, 17, v194
	v_accvgpr_read_b32 v5, a1
	v_accvgpr_read_b32 v22, a8
	;; [unrolled: 1-line block ×7, first 2 shown]
	v_add_f64 v[0:1], v[0:1], v[12:13]
	v_lshl_add_u32 v4, v4, 4, v5
	ds_write_b128 v4, v[0:3]
	ds_write_b128 v4, v[170:173] offset:16
	ds_write_b128 v4, v[236:239] offset:32
	;; [unrolled: 1-line block ×16, first 2 shown]
.LBB0_13:
	s_or_b64 exec, exec, s[4:5]
	s_waitcnt lgkmcnt(0)
	s_barrier
	ds_read_b128 v[4:7], v235
	ds_read_b128 v[0:3], v235 offset:272
	ds_read_b128 v[8:11], v235 offset:544
	;; [unrolled: 1-line block ×12, first 2 shown]
	s_waitcnt lgkmcnt(11)
	v_mul_f64 v[104:105], v[30:31], v[2:3]
	v_fmac_f64_e32 v[104:105], v[28:29], v[0:1]
	v_mul_f64 v[0:1], v[30:31], v[0:1]
	v_fma_f64 v[106:107], v[28:29], v[2:3], -v[0:1]
	s_waitcnt lgkmcnt(10)
	v_mul_f64 v[0:1], v[26:27], v[8:9]
	v_fma_f64 v[110:111], v[24:25], v[10:11], -v[0:1]
	s_waitcnt lgkmcnt(9)
	;; [unrolled: 3-line block ×3, first 2 shown]
	v_mul_f64 v[0:1], v[18:19], v[68:69]
	v_mul_f64 v[108:109], v[26:27], v[10:11]
	v_fma_f64 v[26:27], v[16:17], v[70:71], -v[0:1]
	s_waitcnt lgkmcnt(7)
	v_mul_f64 v[0:1], v[46:47], v[72:73]
	v_fmac_f64_e32 v[108:109], v[24:25], v[8:9]
	v_mul_f64 v[24:25], v[18:19], v[70:71]
	v_fma_f64 v[18:19], v[44:45], v[74:75], -v[0:1]
	s_waitcnt lgkmcnt(6)
	v_mul_f64 v[0:1], v[42:43], v[76:77]
	v_fma_f64 v[10:11], v[40:41], v[78:79], -v[0:1]
	s_waitcnt lgkmcnt(5)
	v_mul_f64 v[0:1], v[38:39], v[80:81]
	v_mul_f64 v[64:65], v[22:23], v[14:15]
	v_fma_f64 v[14:15], v[36:37], v[82:83], -v[0:1]
	s_waitcnt lgkmcnt(4)
	v_mul_f64 v[0:1], v[34:35], v[84:85]
	v_fma_f64 v[22:23], v[32:33], v[86:87], -v[0:1]
	s_waitcnt lgkmcnt(3)
	;; [unrolled: 3-line block ×3, first 2 shown]
	v_mul_f64 v[0:1], v[58:59], v[92:93]
	v_add_f64 v[2:3], v[6:7], v[106:107]
	v_fmac_f64_e32 v[64:65], v[20:21], v[12:13]
	v_mul_f64 v[20:21], v[34:35], v[86:87]
	v_fma_f64 v[34:35], v[56:57], v[94:95], -v[0:1]
	s_waitcnt lgkmcnt(1)
	v_mul_f64 v[0:1], v[54:55], v[96:97]
	v_add_f64 v[2:3], v[2:3], v[110:111]
	v_mul_f64 v[12:13], v[38:39], v[82:83]
	v_fma_f64 v[38:39], v[52:53], v[98:99], -v[0:1]
	s_waitcnt lgkmcnt(0)
	v_mul_f64 v[0:1], v[50:51], v[100:101]
	v_add_f64 v[2:3], v[2:3], v[66:67]
	v_mul_f64 v[8:9], v[42:43], v[78:79]
	v_fma_f64 v[42:43], v[48:49], v[102:103], -v[0:1]
	v_add_f64 v[0:1], v[4:5], v[104:105]
	v_add_f64 v[2:3], v[2:3], v[26:27]
	;; [unrolled: 1-line block ×4, first 2 shown]
	v_fmac_f64_e32 v[24:25], v[16:17], v[68:69]
	v_mul_f64 v[16:17], v[46:47], v[74:75]
	v_add_f64 v[0:1], v[0:1], v[64:65]
	v_add_f64 v[2:3], v[2:3], v[10:11]
	v_fmac_f64_e32 v[16:17], v[44:45], v[72:73]
	v_add_f64 v[0:1], v[0:1], v[24:25]
	v_add_f64 v[2:3], v[2:3], v[14:15]
	v_fmac_f64_e32 v[8:9], v[40:41], v[76:77]
	;; [unrolled: 3-line block ×4, first 2 shown]
	v_mul_f64 v[28:29], v[62:63], v[90:91]
	v_add_f64 v[0:1], v[0:1], v[12:13]
	v_add_f64 v[2:3], v[2:3], v[34:35]
	v_fmac_f64_e32 v[28:29], v[60:61], v[88:89]
	v_mul_f64 v[32:33], v[58:59], v[94:95]
	v_mul_f64 v[40:41], v[50:51], v[102:103]
	v_add_f64 v[0:1], v[0:1], v[20:21]
	v_add_f64 v[2:3], v[2:3], v[38:39]
	s_mov_b32 s20, 0x4267c47c
	s_mov_b32 s14, 0x42a4c3d2
	;; [unrolled: 1-line block ×6, first 2 shown]
	v_fmac_f64_e32 v[32:33], v[56:57], v[92:93]
	v_mul_f64 v[36:37], v[54:55], v[98:99]
	v_fmac_f64_e32 v[40:41], v[48:49], v[100:101]
	v_add_f64 v[0:1], v[0:1], v[28:29]
	v_add_f64 v[2:3], v[2:3], v[42:43]
	;; [unrolled: 1-line block ×3, first 2 shown]
	v_add_f64 v[42:43], v[106:107], -v[42:43]
	s_mov_b32 s21, 0xbfddbe06
	s_mov_b32 s22, 0xe00740e9
	;; [unrolled: 1-line block ×12, first 2 shown]
	v_fmac_f64_e32 v[36:37], v[52:53], v[96:97]
	v_add_f64 v[0:1], v[0:1], v[32:33]
	v_add_f64 v[44:45], v[104:105], v[40:41]
	v_mul_f64 v[48:49], v[42:43], s[20:21]
	s_mov_b32 s23, 0x3fec55a7
	v_mul_f64 v[56:57], v[42:43], s[14:15]
	s_mov_b32 s17, 0x3fe22d96
	;; [unrolled: 2-line block ×6, first 2 shown]
	v_add_f64 v[0:1], v[0:1], v[36:37]
	v_fma_f64 v[50:51], s[22:23], v[44:45], v[48:49]
	v_fma_f64 v[48:49], v[44:45], s[22:23], -v[48:49]
	v_fma_f64 v[58:59], s[16:17], v[44:45], v[56:57]
	v_fma_f64 v[56:57], v[44:45], s[16:17], -v[56:57]
	;; [unrolled: 2-line block ×6, first 2 shown]
	v_add_f64 v[0:1], v[0:1], v[40:41]
	v_add_f64 v[40:41], v[104:105], -v[40:41]
	v_add_f64 v[50:51], v[4:5], v[50:51]
	v_mul_f64 v[52:53], v[46:47], s[22:23]
	s_mov_b32 s25, 0x3fddbe06
	s_mov_b32 s24, s20
	v_add_f64 v[48:49], v[4:5], v[48:49]
	v_add_f64 v[58:59], v[4:5], v[58:59]
	v_mul_f64 v[60:61], v[46:47], s[16:17]
	s_mov_b32 s19, 0x3fea55e2
	s_mov_b32 s18, s14
	v_add_f64 v[56:57], v[4:5], v[56:57]
	;; [unrolled: 5-line block ×6, first 2 shown]
	v_add_f64 v[42:43], v[110:111], v[38:39]
	v_add_f64 v[38:39], v[110:111], -v[38:39]
	v_fma_f64 v[54:55], s[24:25], v[40:41], v[52:53]
	v_fmac_f64_e32 v[52:53], s[20:21], v[40:41]
	v_fma_f64 v[62:63], s[18:19], v[40:41], v[60:61]
	v_fmac_f64_e32 v[60:61], s[14:15], v[40:41]
	;; [unrolled: 2-line block ×6, first 2 shown]
	v_add_f64 v[40:41], v[108:109], v[36:37]
	v_mul_f64 v[44:45], v[38:39], s[14:15]
	v_add_f64 v[54:55], v[6:7], v[54:55]
	v_add_f64 v[52:53], v[6:7], v[52:53]
	v_add_f64 v[62:63], v[6:7], v[62:63]
	v_add_f64 v[60:61], v[6:7], v[60:61]
	v_add_f64 v[74:75], v[6:7], v[74:75]
	v_add_f64 v[72:73], v[6:7], v[72:73]
	v_add_f64 v[82:83], v[6:7], v[82:83]
	v_add_f64 v[80:81], v[6:7], v[80:81]
	v_add_f64 v[90:91], v[6:7], v[90:91]
	v_add_f64 v[88:89], v[6:7], v[88:89]
	v_add_f64 v[94:95], v[6:7], v[94:95]
	v_add_f64 v[6:7], v[6:7], v[46:47]
	v_fma_f64 v[46:47], s[16:17], v[40:41], v[44:45]
	v_add_f64 v[36:37], v[108:109], -v[36:37]
	v_add_f64 v[46:47], v[46:47], v[50:51]
	v_mul_f64 v[50:51], v[42:43], s[16:17]
	v_fma_f64 v[96:97], s[18:19], v[36:37], v[50:51]
	v_fma_f64 v[44:45], v[40:41], s[16:17], -v[44:45]
	v_fmac_f64_e32 v[50:51], s[14:15], v[36:37]
	v_add_f64 v[44:45], v[44:45], v[48:49]
	v_add_f64 v[48:49], v[50:51], v[52:53]
	v_mul_f64 v[50:51], v[38:39], s[26:27]
	v_fma_f64 v[52:53], s[28:29], v[40:41], v[50:51]
	v_add_f64 v[52:53], v[52:53], v[58:59]
	v_mul_f64 v[58:59], v[42:43], s[28:29]
	v_add_f64 v[54:55], v[96:97], v[54:55]
	v_fma_f64 v[96:97], s[30:31], v[36:37], v[58:59]
	v_fma_f64 v[50:51], v[40:41], s[28:29], -v[50:51]
	v_fmac_f64_e32 v[58:59], s[26:27], v[36:37]
	v_add_f64 v[50:51], v[50:51], v[56:57]
	v_add_f64 v[56:57], v[58:59], v[60:61]
	v_mul_f64 v[58:59], v[38:39], s[40:41]
	v_fma_f64 v[60:61], s[42:43], v[40:41], v[58:59]
	v_add_f64 v[60:61], v[60:61], v[70:71]
	v_mul_f64 v[70:71], v[42:43], s[42:43]
	v_add_f64 v[62:63], v[96:97], v[62:63]
	;; [unrolled: 10-line block ×4, first 2 shown]
	v_fma_f64 v[96:97], s[4:5], v[36:37], v[86:87]
	v_fma_f64 v[78:79], v[40:41], s[6:7], -v[78:79]
	v_fmac_f64_e32 v[86:87], s[10:11], v[36:37]
	v_mul_f64 v[38:39], v[38:39], s[24:25]
	v_add_f64 v[78:79], v[78:79], v[84:85]
	v_add_f64 v[84:85], v[86:87], v[88:89]
	v_fma_f64 v[86:87], s[22:23], v[40:41], v[38:39]
	v_fma_f64 v[38:39], v[40:41], s[22:23], -v[38:39]
	v_mul_f64 v[42:43], v[42:43], s[22:23]
	v_add_f64 v[4:5], v[38:39], v[4:5]
	v_add_f64 v[38:39], v[66:67], v[34:35]
	v_add_f64 v[34:35], v[66:67], -v[34:35]
	v_fma_f64 v[88:89], s[20:21], v[36:37], v[42:43]
	v_fmac_f64_e32 v[42:43], s[24:25], v[36:37]
	v_add_f64 v[36:37], v[64:65], v[32:33]
	v_mul_f64 v[40:41], v[34:35], s[4:5]
	v_add_f64 v[6:7], v[42:43], v[6:7]
	v_fma_f64 v[42:43], s[6:7], v[36:37], v[40:41]
	v_add_f64 v[32:33], v[64:65], -v[32:33]
	v_add_f64 v[42:43], v[42:43], v[46:47]
	v_mul_f64 v[46:47], v[38:39], s[6:7]
	v_fma_f64 v[64:65], s[10:11], v[32:33], v[46:47]
	v_fma_f64 v[40:41], v[36:37], s[6:7], -v[40:41]
	v_fmac_f64_e32 v[46:47], s[4:5], v[32:33]
	v_add_f64 v[40:41], v[40:41], v[44:45]
	v_add_f64 v[44:45], v[46:47], v[48:49]
	v_mul_f64 v[46:47], v[34:35], s[40:41]
	v_fma_f64 v[48:49], s[42:43], v[36:37], v[46:47]
	v_add_f64 v[48:49], v[48:49], v[52:53]
	v_mul_f64 v[52:53], v[38:39], s[42:43]
	v_add_f64 v[54:55], v[64:65], v[54:55]
	v_fma_f64 v[64:65], s[44:45], v[32:33], v[52:53]
	v_fma_f64 v[46:47], v[36:37], s[42:43], -v[46:47]
	v_fmac_f64_e32 v[52:53], s[40:41], v[32:33]
	v_add_f64 v[46:47], v[46:47], v[50:51]
	v_add_f64 v[50:51], v[52:53], v[56:57]
	v_mul_f64 v[52:53], v[34:35], s[30:31]
	v_fma_f64 v[56:57], s[28:29], v[36:37], v[52:53]
	v_add_f64 v[56:57], v[56:57], v[60:61]
	v_mul_f64 v[60:61], v[38:39], s[28:29]
	v_add_f64 v[62:63], v[64:65], v[62:63]
	v_fma_f64 v[64:65], s[26:27], v[32:33], v[60:61]
	v_fma_f64 v[52:53], v[36:37], s[28:29], -v[52:53]
	v_fmac_f64_e32 v[60:61], s[30:31], v[32:33]
	v_add_f64 v[52:53], v[52:53], v[58:59]
	v_add_f64 v[58:59], v[60:61], v[68:69]
	v_mul_f64 v[60:61], v[34:35], s[24:25]
	v_fma_f64 v[66:67], s[22:23], v[36:37], v[60:61]
	v_fma_f64 v[60:61], v[36:37], s[22:23], -v[60:61]
	v_add_f64 v[60:61], v[60:61], v[70:71]
	v_mul_f64 v[70:71], v[34:35], s[14:15]
	v_add_f64 v[64:65], v[64:65], v[74:75]
	v_mul_f64 v[68:69], v[38:39], s[22:23]
	v_fma_f64 v[74:75], s[16:17], v[36:37], v[70:71]
	v_fma_f64 v[70:71], v[36:37], s[16:17], -v[70:71]
	v_mul_f64 v[34:35], v[34:35], s[34:35]
	v_add_f64 v[66:67], v[66:67], v[72:73]
	v_fma_f64 v[72:73], s[20:21], v[32:33], v[68:69]
	v_fmac_f64_e32 v[68:69], s[24:25], v[32:33]
	v_add_f64 v[70:71], v[70:71], v[78:79]
	v_fma_f64 v[78:79], s[36:37], v[36:37], v[34:35]
	v_fma_f64 v[34:35], v[36:37], s[36:37], -v[34:35]
	v_add_f64 v[68:69], v[68:69], v[76:77]
	v_mul_f64 v[76:77], v[38:39], s[16:17]
	v_mul_f64 v[38:39], v[38:39], s[36:37]
	v_add_f64 v[4:5], v[34:35], v[4:5]
	v_add_f64 v[34:35], v[26:27], v[30:31]
	v_add_f64 v[26:27], v[26:27], -v[30:31]
	v_add_f64 v[72:73], v[72:73], v[82:83]
	v_add_f64 v[74:75], v[74:75], v[80:81]
	v_fma_f64 v[80:81], s[18:19], v[32:33], v[76:77]
	v_fmac_f64_e32 v[76:77], s[14:15], v[32:33]
	v_fma_f64 v[82:83], s[38:39], v[32:33], v[38:39]
	v_fmac_f64_e32 v[38:39], s[34:35], v[32:33]
	v_add_f64 v[32:33], v[24:25], v[28:29]
	v_add_f64 v[24:25], v[24:25], -v[28:29]
	v_mul_f64 v[28:29], v[26:27], s[26:27]
	v_fma_f64 v[30:31], s[28:29], v[32:33], v[28:29]
	v_mul_f64 v[36:37], v[34:35], s[28:29]
	v_fma_f64 v[28:29], v[32:33], s[28:29], -v[28:29]
	v_add_f64 v[6:7], v[38:39], v[6:7]
	v_fma_f64 v[38:39], s[30:31], v[24:25], v[36:37]
	v_add_f64 v[28:29], v[28:29], v[40:41]
	v_fmac_f64_e32 v[36:37], s[26:27], v[24:25]
	v_mul_f64 v[40:41], v[26:27], s[38:39]
	v_add_f64 v[30:31], v[30:31], v[42:43]
	v_add_f64 v[36:37], v[36:37], v[44:45]
	v_fma_f64 v[42:43], s[36:37], v[32:33], v[40:41]
	v_mul_f64 v[44:45], v[34:35], s[36:37]
	v_fma_f64 v[40:41], v[32:33], s[36:37], -v[40:41]
	v_add_f64 v[42:43], v[42:43], v[48:49]
	v_fma_f64 v[48:49], s[34:35], v[24:25], v[44:45]
	v_add_f64 v[40:41], v[40:41], v[46:47]
	v_fmac_f64_e32 v[44:45], s[38:39], v[24:25]
	v_mul_f64 v[46:47], v[26:27], s[24:25]
	v_add_f64 v[38:39], v[38:39], v[54:55]
	v_add_f64 v[44:45], v[44:45], v[50:51]
	v_fma_f64 v[50:51], s[22:23], v[32:33], v[46:47]
	v_mul_f64 v[54:55], v[34:35], s[22:23]
	v_add_f64 v[50:51], v[50:51], v[56:57]
	v_fma_f64 v[56:57], s[20:21], v[24:25], v[54:55]
	v_fma_f64 v[46:47], v[32:33], s[22:23], -v[46:47]
	v_fmac_f64_e32 v[54:55], s[24:25], v[24:25]
	v_add_f64 v[48:49], v[48:49], v[62:63]
	v_add_f64 v[46:47], v[46:47], v[52:53]
	;; [unrolled: 1-line block ×3, first 2 shown]
	v_mul_f64 v[54:55], v[26:27], s[4:5]
	v_mul_f64 v[62:63], v[34:35], s[6:7]
	v_add_f64 v[56:57], v[56:57], v[64:65]
	v_fma_f64 v[58:59], s[6:7], v[32:33], v[54:55]
	v_fma_f64 v[64:65], s[10:11], v[24:25], v[62:63]
	v_fma_f64 v[54:55], v[32:33], s[6:7], -v[54:55]
	v_fmac_f64_e32 v[62:63], s[4:5], v[24:25]
	v_add_f64 v[54:55], v[54:55], v[60:61]
	v_add_f64 v[60:61], v[62:63], v[68:69]
	v_mul_f64 v[62:63], v[26:27], s[44:45]
	v_add_f64 v[58:59], v[58:59], v[66:67]
	v_fma_f64 v[66:67], s[42:43], v[32:33], v[62:63]
	v_fma_f64 v[62:63], v[32:33], s[42:43], -v[62:63]
	v_mul_f64 v[26:27], v[26:27], s[18:19]
	v_add_f64 v[62:63], v[62:63], v[70:71]
	v_fma_f64 v[70:71], s[16:17], v[32:33], v[26:27]
	v_fma_f64 v[26:27], v[32:33], s[16:17], -v[26:27]
	v_mul_f64 v[68:69], v[34:35], s[42:43]
	v_mul_f64 v[34:35], v[34:35], s[16:17]
	v_add_f64 v[4:5], v[26:27], v[4:5]
	v_add_f64 v[26:27], v[18:19], v[22:23]
	v_add_f64 v[18:19], v[18:19], -v[22:23]
	v_add_f64 v[64:65], v[64:65], v[72:73]
	v_add_f64 v[66:67], v[66:67], v[74:75]
	v_fma_f64 v[72:73], s[40:41], v[24:25], v[68:69]
	v_fmac_f64_e32 v[68:69], s[44:45], v[24:25]
	v_fma_f64 v[74:75], s[14:15], v[24:25], v[34:35]
	v_fmac_f64_e32 v[34:35], s[18:19], v[24:25]
	v_add_f64 v[24:25], v[16:17], v[20:21]
	v_add_f64 v[16:17], v[16:17], -v[20:21]
	v_mul_f64 v[20:21], v[18:19], s[34:35]
	v_fma_f64 v[22:23], s[36:37], v[24:25], v[20:21]
	v_add_f64 v[22:23], v[22:23], v[30:31]
	v_mul_f64 v[30:31], v[26:27], s[36:37]
	v_fma_f64 v[32:33], s[38:39], v[16:17], v[30:31]
	v_fma_f64 v[20:21], v[24:25], s[36:37], -v[20:21]
	v_fmac_f64_e32 v[30:31], s[34:35], v[16:17]
	v_add_f64 v[20:21], v[20:21], v[28:29]
	v_add_f64 v[28:29], v[30:31], v[36:37]
	v_mul_f64 v[30:31], v[18:19], s[10:11]
	v_add_f64 v[6:7], v[34:35], v[6:7]
	v_fma_f64 v[34:35], s[6:7], v[24:25], v[30:31]
	v_mul_f64 v[36:37], v[26:27], s[6:7]
	v_fma_f64 v[30:31], v[24:25], s[6:7], -v[30:31]
	v_add_f64 v[32:33], v[32:33], v[38:39]
	v_fma_f64 v[38:39], s[4:5], v[16:17], v[36:37]
	v_add_f64 v[30:31], v[30:31], v[40:41]
	v_fmac_f64_e32 v[36:37], s[10:11], v[16:17]
	v_mul_f64 v[40:41], v[18:19], s[14:15]
	v_add_f64 v[34:35], v[34:35], v[42:43]
	v_add_f64 v[36:37], v[36:37], v[44:45]
	v_fma_f64 v[42:43], s[16:17], v[24:25], v[40:41]
	v_mul_f64 v[44:45], v[26:27], s[16:17]
	v_fma_f64 v[40:41], v[24:25], s[16:17], -v[40:41]
	v_add_f64 v[38:39], v[38:39], v[48:49]
	v_fma_f64 v[48:49], s[18:19], v[16:17], v[44:45]
	v_add_f64 v[40:41], v[40:41], v[46:47]
	v_fmac_f64_e32 v[44:45], s[14:15], v[16:17]
	v_mul_f64 v[46:47], v[18:19], s[44:45]
	v_add_f64 v[42:43], v[42:43], v[50:51]
	v_add_f64 v[44:45], v[44:45], v[52:53]
	v_fma_f64 v[50:51], s[42:43], v[24:25], v[46:47]
	v_mul_f64 v[52:53], v[26:27], s[42:43]
	v_fma_f64 v[46:47], v[24:25], s[42:43], -v[46:47]
	v_add_f64 v[88:89], v[88:89], v[94:95]
	v_add_f64 v[48:49], v[48:49], v[56:57]
	v_fma_f64 v[56:57], s[40:41], v[16:17], v[52:53]
	v_add_f64 v[46:47], v[46:47], v[54:55]
	v_fmac_f64_e32 v[52:53], s[44:45], v[16:17]
	v_mul_f64 v[54:55], v[18:19], s[24:25]
	v_add_f64 v[82:83], v[82:83], v[88:89]
	v_add_f64 v[50:51], v[50:51], v[58:59]
	v_add_f64 v[52:53], v[52:53], v[60:61]
	v_fma_f64 v[58:59], s[22:23], v[24:25], v[54:55]
	v_mul_f64 v[60:61], v[26:27], s[22:23]
	v_mul_f64 v[26:27], v[26:27], s[28:29]
	v_add_f64 v[90:91], v[96:97], v[90:91]
	v_add_f64 v[86:87], v[86:87], v[92:93]
	;; [unrolled: 1-line block ×4, first 2 shown]
	v_fma_f64 v[66:67], s[30:31], v[16:17], v[26:27]
	v_add_f64 v[80:81], v[80:81], v[90:91]
	v_add_f64 v[76:77], v[76:77], v[84:85]
	v_add_f64 v[78:79], v[78:79], v[86:87]
	v_fma_f64 v[54:55], v[24:25], s[22:23], -v[54:55]
	v_mul_f64 v[18:19], v[18:19], s[26:27]
	v_add_f64 v[66:67], v[66:67], v[74:75]
	v_add_f64 v[74:75], v[10:11], v[14:15]
	;; [unrolled: 1-line block ×6, first 2 shown]
	v_fma_f64 v[64:65], s[20:21], v[16:17], v[60:61]
	v_add_f64 v[54:55], v[54:55], v[62:63]
	v_fma_f64 v[62:63], s[28:29], v[24:25], v[18:19]
	v_fmac_f64_e32 v[26:27], s[26:27], v[16:17]
	v_add_f64 v[76:77], v[8:9], -v[12:13]
	v_add_f64 v[78:79], v[10:11], -v[14:15]
	v_mul_f64 v[10:11], v[74:75], s[42:43]
	v_add_f64 v[64:65], v[64:65], v[72:73]
	v_fmac_f64_e32 v[60:61], s[24:25], v[16:17]
	v_add_f64 v[62:63], v[62:63], v[70:71]
	v_fma_f64 v[18:19], v[24:25], s[28:29], -v[18:19]
	v_add_f64 v[70:71], v[26:27], v[6:7]
	v_add_f64 v[72:73], v[8:9], v[12:13]
	v_mul_f64 v[8:9], v[78:79], s[40:41]
	v_fma_f64 v[6:7], s[44:45], v[76:77], v[10:11]
	v_add_f64 v[60:61], v[60:61], v[68:69]
	v_add_f64 v[68:69], v[18:19], v[4:5]
	v_fma_f64 v[4:5], s[42:43], v[72:73], v[8:9]
	v_add_f64 v[6:7], v[6:7], v[32:33]
	v_fma_f64 v[8:9], v[72:73], s[42:43], -v[8:9]
	v_fmac_f64_e32 v[10:11], s[40:41], v[76:77]
	v_mul_f64 v[16:17], v[78:79], s[24:25]
	v_mul_f64 v[24:25], v[78:79], s[34:35]
	;; [unrolled: 1-line block ×4, first 2 shown]
	v_add_f64 v[4:5], v[4:5], v[22:23]
	v_add_f64 v[8:9], v[8:9], v[20:21]
	;; [unrolled: 1-line block ×3, first 2 shown]
	v_fma_f64 v[12:13], s[22:23], v[72:73], v[16:17]
	v_mul_f64 v[18:19], v[74:75], s[22:23]
	v_fma_f64 v[20:21], s[36:37], v[72:73], v[24:25]
	v_fma_f64 v[22:23], s[38:39], v[76:77], v[26:27]
	v_fma_f64 v[24:25], v[72:73], s[36:37], -v[24:25]
	v_fma_f64 v[28:29], s[16:17], v[72:73], v[32:33]
	v_add_f64 v[12:13], v[12:13], v[34:35]
	v_fma_f64 v[14:15], s[20:21], v[76:77], v[18:19]
	v_fma_f64 v[16:17], v[72:73], s[22:23], -v[16:17]
	v_fmac_f64_e32 v[18:19], s[24:25], v[76:77]
	v_add_f64 v[20:21], v[20:21], v[42:43]
	v_add_f64 v[22:23], v[22:23], v[48:49]
	;; [unrolled: 1-line block ×3, first 2 shown]
	v_fmac_f64_e32 v[26:27], s[34:35], v[76:77]
	v_add_f64 v[28:29], v[28:29], v[50:51]
	v_mul_f64 v[34:35], v[74:75], s[16:17]
	v_fma_f64 v[32:33], v[72:73], s[16:17], -v[32:33]
	v_mul_f64 v[40:41], v[78:79], s[26:27]
	v_mul_f64 v[42:43], v[74:75], s[28:29]
	;; [unrolled: 1-line block ×4, first 2 shown]
	v_add_f64 v[14:15], v[14:15], v[38:39]
	v_add_f64 v[16:17], v[16:17], v[30:31]
	;; [unrolled: 1-line block ×4, first 2 shown]
	v_fma_f64 v[30:31], s[14:15], v[76:77], v[34:35]
	v_add_f64 v[32:33], v[32:33], v[46:47]
	v_fmac_f64_e32 v[34:35], s[18:19], v[76:77]
	v_fma_f64 v[36:37], s[28:29], v[72:73], v[40:41]
	v_fma_f64 v[38:39], s[30:31], v[76:77], v[42:43]
	v_fma_f64 v[40:41], v[72:73], s[28:29], -v[40:41]
	v_fmac_f64_e32 v[42:43], s[26:27], v[76:77]
	v_fma_f64 v[44:45], s[6:7], v[72:73], v[48:49]
	v_fma_f64 v[46:47], s[4:5], v[76:77], v[50:51]
	v_fma_f64 v[48:49], v[72:73], s[6:7], -v[48:49]
	v_fmac_f64_e32 v[50:51], s[10:11], v[76:77]
	v_add_f64 v[30:31], v[30:31], v[56:57]
	v_add_f64 v[34:35], v[34:35], v[52:53]
	v_add_f64 v[36:37], v[36:37], v[58:59]
	v_add_f64 v[38:39], v[38:39], v[64:65]
	v_add_f64 v[40:41], v[40:41], v[54:55]
	v_add_f64 v[42:43], v[42:43], v[60:61]
	v_add_f64 v[44:45], v[44:45], v[62:63]
	v_add_f64 v[46:47], v[46:47], v[66:67]
	v_add_f64 v[48:49], v[48:49], v[68:69]
	v_add_f64 v[50:51], v[50:51], v[70:71]
	ds_write_b128 v234, v[0:3]
	ds_write_b128 v234, v[4:7] offset:272
	ds_write_b128 v234, v[12:15] offset:544
	;; [unrolled: 1-line block ×12, first 2 shown]
	s_waitcnt lgkmcnt(0)
	s_barrier
	s_and_b64 exec, exec, vcc
	s_cbranch_execz .LBB0_15
; %bb.14:
	global_load_dwordx4 v[2:5], v169, s[8:9]
	v_mad_u64_u32 v[14:15], s[4:5], s2, v168, 0
	v_mad_u64_u32 v[16:17], s[6:7], s0, v194, 0
	ds_read_b128 v[6:9], v234
	ds_read_b128 v[10:13], v234 offset:208
	v_mov_b32_e32 v18, v15
	v_mov_b32_e32 v20, v17
	v_mad_u64_u32 v[18:19], s[2:3], s3, v168, v[18:19]
	v_mov_b32_e32 v0, s12
	v_mov_b32_e32 v1, s13
	v_mad_u64_u32 v[20:21], s[2:3], s1, v194, v[20:21]
	v_mov_b32_e32 v15, v18
	v_mov_b32_e32 v17, v20
	v_lshl_add_u64 v[0:1], v[14:15], 4, v[0:1]
	s_mov_b32 s4, 0x1288b013
	v_lshl_add_u64 v[14:15], v[16:17], 4, v[0:1]
	s_mov_b32 s5, 0x3f7288b0
	s_mul_i32 s2, s1, 0xd0
	s_waitcnt vmcnt(0) lgkmcnt(1)
	v_mul_f64 v[16:17], v[8:9], v[4:5]
	v_mul_f64 v[4:5], v[6:7], v[4:5]
	v_fmac_f64_e32 v[16:17], v[6:7], v[2:3]
	v_fma_f64 v[4:5], v[2:3], v[8:9], -v[4:5]
	v_mul_f64 v[2:3], v[16:17], s[4:5]
	v_mul_f64 v[4:5], v[4:5], s[4:5]
	global_store_dwordx4 v[14:15], v[2:5], off
	global_load_dwordx4 v[4:7], v169, s[8:9] offset:208
	s_waitcnt vmcnt(0) lgkmcnt(0)
	v_mul_f64 v[8:9], v[12:13], v[6:7]
	v_mov_b32_e32 v2, 0xd0
	v_mul_f64 v[6:7], v[10:11], v[6:7]
	v_mad_u64_u32 v[16:17], s[6:7], s0, v2, v[14:15]
	v_fmac_f64_e32 v[8:9], v[10:11], v[4:5]
	v_fma_f64 v[6:7], v[4:5], v[12:13], -v[6:7]
	v_add_u32_e32 v17, s2, v17
	v_mul_f64 v[4:5], v[8:9], s[4:5]
	v_mul_f64 v[6:7], v[6:7], s[4:5]
	global_store_dwordx4 v[16:17], v[4:7], off
	global_load_dwordx4 v[4:7], v169, s[8:9] offset:416
	ds_read_b128 v[8:11], v234 offset:416
	ds_read_b128 v[12:15], v234 offset:624
	v_mad_u64_u32 v[16:17], s[6:7], s0, v2, v[16:17]
	v_add_u32_e32 v17, s2, v17
	s_waitcnt vmcnt(0) lgkmcnt(1)
	v_mul_f64 v[18:19], v[10:11], v[6:7]
	v_mul_f64 v[6:7], v[8:9], v[6:7]
	v_fmac_f64_e32 v[18:19], v[8:9], v[4:5]
	v_fma_f64 v[6:7], v[4:5], v[10:11], -v[6:7]
	v_mul_f64 v[4:5], v[18:19], s[4:5]
	v_mul_f64 v[6:7], v[6:7], s[4:5]
	global_store_dwordx4 v[16:17], v[4:7], off
	global_load_dwordx4 v[4:7], v169, s[8:9] offset:624
	v_mad_u64_u32 v[16:17], s[6:7], s0, v2, v[16:17]
	v_add_u32_e32 v17, s2, v17
	s_waitcnt vmcnt(0) lgkmcnt(0)
	v_mul_f64 v[8:9], v[14:15], v[6:7]
	v_mul_f64 v[6:7], v[12:13], v[6:7]
	v_fmac_f64_e32 v[8:9], v[12:13], v[4:5]
	v_fma_f64 v[6:7], v[4:5], v[14:15], -v[6:7]
	v_mul_f64 v[4:5], v[8:9], s[4:5]
	v_mul_f64 v[6:7], v[6:7], s[4:5]
	global_store_dwordx4 v[16:17], v[4:7], off
	global_load_dwordx4 v[4:7], v169, s[8:9] offset:832
	ds_read_b128 v[8:11], v234 offset:832
	ds_read_b128 v[12:15], v234 offset:1040
	v_mad_u64_u32 v[16:17], s[6:7], s0, v2, v[16:17]
	v_add_u32_e32 v17, s2, v17
	s_waitcnt vmcnt(0) lgkmcnt(1)
	v_mul_f64 v[18:19], v[10:11], v[6:7]
	v_mul_f64 v[6:7], v[8:9], v[6:7]
	v_fmac_f64_e32 v[18:19], v[8:9], v[4:5]
	v_fma_f64 v[6:7], v[4:5], v[10:11], -v[6:7]
	v_mul_f64 v[4:5], v[18:19], s[4:5]
	v_mul_f64 v[6:7], v[6:7], s[4:5]
	global_store_dwordx4 v[16:17], v[4:7], off
	global_load_dwordx4 v[4:7], v169, s[8:9] offset:1040
	v_mad_u64_u32 v[16:17], s[6:7], s0, v2, v[16:17]
	v_add_u32_e32 v17, s2, v17
	s_waitcnt vmcnt(0) lgkmcnt(0)
	v_mul_f64 v[8:9], v[14:15], v[6:7]
	v_mul_f64 v[6:7], v[12:13], v[6:7]
	v_fmac_f64_e32 v[8:9], v[12:13], v[4:5]
	v_fma_f64 v[6:7], v[4:5], v[14:15], -v[6:7]
	v_mul_f64 v[4:5], v[8:9], s[4:5]
	v_mul_f64 v[6:7], v[6:7], s[4:5]
	global_store_dwordx4 v[16:17], v[4:7], off
	global_load_dwordx4 v[4:7], v169, s[8:9] offset:1248
	ds_read_b128 v[8:11], v234 offset:1248
	ds_read_b128 v[12:15], v234 offset:1456
	v_mad_u64_u32 v[16:17], s[6:7], s0, v2, v[16:17]
	v_add_u32_e32 v17, s2, v17
	s_waitcnt vmcnt(0) lgkmcnt(1)
	v_mul_f64 v[18:19], v[10:11], v[6:7]
	v_mul_f64 v[6:7], v[8:9], v[6:7]
	v_fmac_f64_e32 v[18:19], v[8:9], v[4:5]
	v_fma_f64 v[6:7], v[4:5], v[10:11], -v[6:7]
	v_mul_f64 v[4:5], v[18:19], s[4:5]
	v_mul_f64 v[6:7], v[6:7], s[4:5]
	global_store_dwordx4 v[16:17], v[4:7], off
	global_load_dwordx4 v[4:7], v169, s[8:9] offset:1456
	v_mad_u64_u32 v[16:17], s[6:7], s0, v2, v[16:17]
	v_add_u32_e32 v17, s2, v17
	s_waitcnt vmcnt(0) lgkmcnt(0)
	v_mul_f64 v[8:9], v[14:15], v[6:7]
	v_mul_f64 v[6:7], v[12:13], v[6:7]
	v_fmac_f64_e32 v[8:9], v[12:13], v[4:5]
	v_fma_f64 v[6:7], v[4:5], v[14:15], -v[6:7]
	v_mul_f64 v[4:5], v[8:9], s[4:5]
	v_mul_f64 v[6:7], v[6:7], s[4:5]
	global_store_dwordx4 v[16:17], v[4:7], off
	global_load_dwordx4 v[4:7], v169, s[8:9] offset:1664
	ds_read_b128 v[8:11], v234 offset:1664
	ds_read_b128 v[12:15], v234 offset:1872
	v_mad_u64_u32 v[16:17], s[6:7], s0, v2, v[16:17]
	v_add_u32_e32 v17, s2, v17
	s_waitcnt vmcnt(0) lgkmcnt(1)
	v_mul_f64 v[18:19], v[10:11], v[6:7]
	v_mul_f64 v[6:7], v[8:9], v[6:7]
	v_fmac_f64_e32 v[18:19], v[8:9], v[4:5]
	v_fma_f64 v[6:7], v[4:5], v[10:11], -v[6:7]
	v_mul_f64 v[4:5], v[18:19], s[4:5]
	v_mul_f64 v[6:7], v[6:7], s[4:5]
	global_store_dwordx4 v[16:17], v[4:7], off
	global_load_dwordx4 v[4:7], v169, s[8:9] offset:1872
	v_mad_u64_u32 v[16:17], s[6:7], s0, v2, v[16:17]
	v_add_u32_e32 v17, s2, v17
	s_waitcnt vmcnt(0) lgkmcnt(0)
	v_mul_f64 v[8:9], v[14:15], v[6:7]
	v_mul_f64 v[6:7], v[12:13], v[6:7]
	v_fmac_f64_e32 v[8:9], v[12:13], v[4:5]
	v_fma_f64 v[6:7], v[4:5], v[14:15], -v[6:7]
	v_mul_f64 v[4:5], v[8:9], s[4:5]
	v_mul_f64 v[6:7], v[6:7], s[4:5]
	global_store_dwordx4 v[16:17], v[4:7], off
	global_load_dwordx4 v[4:7], v169, s[8:9] offset:2080
	ds_read_b128 v[8:11], v234 offset:2080
	ds_read_b128 v[12:15], v234 offset:2288
	v_mad_u64_u32 v[16:17], s[6:7], s0, v2, v[16:17]
	v_add_u32_e32 v17, s2, v17
	s_waitcnt vmcnt(0) lgkmcnt(1)
	v_mul_f64 v[18:19], v[10:11], v[6:7]
	v_mul_f64 v[6:7], v[8:9], v[6:7]
	v_fmac_f64_e32 v[18:19], v[8:9], v[4:5]
	v_fma_f64 v[6:7], v[4:5], v[10:11], -v[6:7]
	v_mul_f64 v[4:5], v[18:19], s[4:5]
	v_mul_f64 v[6:7], v[6:7], s[4:5]
	global_store_dwordx4 v[16:17], v[4:7], off
	global_load_dwordx4 v[4:7], v169, s[8:9] offset:2288
	v_mad_u64_u32 v[16:17], s[6:7], s0, v2, v[16:17]
	v_add_u32_e32 v17, s2, v17
	s_waitcnt vmcnt(0) lgkmcnt(0)
	v_mul_f64 v[8:9], v[14:15], v[6:7]
	v_mul_f64 v[6:7], v[12:13], v[6:7]
	v_fmac_f64_e32 v[8:9], v[12:13], v[4:5]
	v_fma_f64 v[6:7], v[4:5], v[14:15], -v[6:7]
	v_mul_f64 v[4:5], v[8:9], s[4:5]
	v_mul_f64 v[6:7], v[6:7], s[4:5]
	global_store_dwordx4 v[16:17], v[4:7], off
	global_load_dwordx4 v[4:7], v169, s[8:9] offset:2496
	ds_read_b128 v[8:11], v234 offset:2496
	ds_read_b128 v[12:15], v234 offset:2704
	v_mad_u64_u32 v[16:17], s[6:7], s0, v2, v[16:17]
	v_add_u32_e32 v17, s2, v17
	s_waitcnt vmcnt(0) lgkmcnt(1)
	v_mul_f64 v[18:19], v[10:11], v[6:7]
	v_mul_f64 v[6:7], v[8:9], v[6:7]
	v_fmac_f64_e32 v[18:19], v[8:9], v[4:5]
	v_fma_f64 v[6:7], v[4:5], v[10:11], -v[6:7]
	v_mul_f64 v[4:5], v[18:19], s[4:5]
	v_mul_f64 v[6:7], v[6:7], s[4:5]
	global_store_dwordx4 v[16:17], v[4:7], off
	global_load_dwordx4 v[4:7], v169, s[8:9] offset:2704
	v_mad_u64_u32 v[16:17], s[6:7], s0, v2, v[16:17]
	v_add_u32_e32 v17, s2, v17
	s_waitcnt vmcnt(0) lgkmcnt(0)
	v_mul_f64 v[8:9], v[14:15], v[6:7]
	v_mul_f64 v[6:7], v[12:13], v[6:7]
	v_fmac_f64_e32 v[8:9], v[12:13], v[4:5]
	v_fma_f64 v[6:7], v[4:5], v[14:15], -v[6:7]
	v_mul_f64 v[4:5], v[8:9], s[4:5]
	v_mul_f64 v[6:7], v[6:7], s[4:5]
	global_store_dwordx4 v[16:17], v[4:7], off
	global_load_dwordx4 v[4:7], v169, s[8:9] offset:2912
	ds_read_b128 v[8:11], v234 offset:2912
	ds_read_b128 v[12:15], v234 offset:3120
	v_mad_u64_u32 v[16:17], s[6:7], s0, v2, v[16:17]
	v_add_u32_e32 v17, s2, v17
	s_waitcnt vmcnt(0) lgkmcnt(1)
	v_mul_f64 v[18:19], v[10:11], v[6:7]
	v_mul_f64 v[6:7], v[8:9], v[6:7]
	v_fmac_f64_e32 v[18:19], v[8:9], v[4:5]
	v_fma_f64 v[6:7], v[4:5], v[10:11], -v[6:7]
	v_mul_f64 v[4:5], v[18:19], s[4:5]
	v_mul_f64 v[6:7], v[6:7], s[4:5]
	global_store_dwordx4 v[16:17], v[4:7], off
	global_load_dwordx4 v[4:7], v169, s[8:9] offset:3120
	v_mad_u64_u32 v[8:9], s[6:7], s0, v2, v[16:17]
	v_add_u32_e32 v9, s2, v9
	s_waitcnt vmcnt(0) lgkmcnt(0)
	v_mul_f64 v[2:3], v[14:15], v[6:7]
	v_mul_f64 v[6:7], v[12:13], v[6:7]
	v_fmac_f64_e32 v[2:3], v[12:13], v[4:5]
	v_fma_f64 v[4:5], v[4:5], v[14:15], -v[6:7]
	v_mul_f64 v[2:3], v[2:3], s[4:5]
	v_mul_f64 v[4:5], v[4:5], s[4:5]
	global_store_dwordx4 v[8:9], v[2:5], off
	global_load_dwordx4 v[2:5], v169, s[8:9] offset:3328
	ds_read_b128 v[6:9], v234 offset:3328
	v_or_b32_e32 v13, 0xd0, v194
	v_mad_u64_u32 v[10:11], s[2:3], s0, v13, 0
	v_mov_b32_e32 v12, v11
	v_mad_u64_u32 v[12:13], s[0:1], s1, v13, v[12:13]
	v_mov_b32_e32 v11, v12
	v_lshl_add_u64 v[0:1], v[10:11], 4, v[0:1]
	s_waitcnt vmcnt(0) lgkmcnt(0)
	v_mul_f64 v[12:13], v[8:9], v[4:5]
	v_mul_f64 v[4:5], v[6:7], v[4:5]
	v_fmac_f64_e32 v[12:13], v[6:7], v[2:3]
	v_fma_f64 v[4:5], v[2:3], v[8:9], -v[4:5]
	v_mul_f64 v[2:3], v[12:13], s[4:5]
	v_mul_f64 v[4:5], v[4:5], s[4:5]
	global_store_dwordx4 v[0:1], v[2:5], off
.LBB0_15:
	s_endpgm
	.section	.rodata,"a",@progbits
	.p2align	6, 0x0
	.amdhsa_kernel bluestein_single_fwd_len221_dim1_dp_op_CI_CI
		.amdhsa_group_segment_fixed_size 24752
		.amdhsa_private_segment_fixed_size 0
		.amdhsa_kernarg_size 104
		.amdhsa_user_sgpr_count 2
		.amdhsa_user_sgpr_dispatch_ptr 0
		.amdhsa_user_sgpr_queue_ptr 0
		.amdhsa_user_sgpr_kernarg_segment_ptr 1
		.amdhsa_user_sgpr_dispatch_id 0
		.amdhsa_user_sgpr_kernarg_preload_length 0
		.amdhsa_user_sgpr_kernarg_preload_offset 0
		.amdhsa_user_sgpr_private_segment_size 0
		.amdhsa_uses_dynamic_stack 0
		.amdhsa_enable_private_segment 0
		.amdhsa_system_sgpr_workgroup_id_x 1
		.amdhsa_system_sgpr_workgroup_id_y 0
		.amdhsa_system_sgpr_workgroup_id_z 0
		.amdhsa_system_sgpr_workgroup_info 0
		.amdhsa_system_vgpr_workitem_id 0
		.amdhsa_next_free_vgpr 338
		.amdhsa_next_free_sgpr 60
		.amdhsa_accum_offset 256
		.amdhsa_reserve_vcc 1
		.amdhsa_float_round_mode_32 0
		.amdhsa_float_round_mode_16_64 0
		.amdhsa_float_denorm_mode_32 3
		.amdhsa_float_denorm_mode_16_64 3
		.amdhsa_dx10_clamp 1
		.amdhsa_ieee_mode 1
		.amdhsa_fp16_overflow 0
		.amdhsa_tg_split 0
		.amdhsa_exception_fp_ieee_invalid_op 0
		.amdhsa_exception_fp_denorm_src 0
		.amdhsa_exception_fp_ieee_div_zero 0
		.amdhsa_exception_fp_ieee_overflow 0
		.amdhsa_exception_fp_ieee_underflow 0
		.amdhsa_exception_fp_ieee_inexact 0
		.amdhsa_exception_int_div_zero 0
	.end_amdhsa_kernel
	.text
.Lfunc_end0:
	.size	bluestein_single_fwd_len221_dim1_dp_op_CI_CI, .Lfunc_end0-bluestein_single_fwd_len221_dim1_dp_op_CI_CI
                                        ; -- End function
	.section	.AMDGPU.csdata,"",@progbits
; Kernel info:
; codeLenInByte = 26500
; NumSgprs: 66
; NumVgprs: 256
; NumAgprs: 82
; TotalNumVgprs: 338
; ScratchSize: 0
; MemoryBound: 0
; FloatMode: 240
; IeeeMode: 1
; LDSByteSize: 24752 bytes/workgroup (compile time only)
; SGPRBlocks: 8
; VGPRBlocks: 42
; NumSGPRsForWavesPerEU: 66
; NumVGPRsForWavesPerEU: 338
; AccumOffset: 256
; Occupancy: 1
; WaveLimiterHint : 1
; COMPUTE_PGM_RSRC2:SCRATCH_EN: 0
; COMPUTE_PGM_RSRC2:USER_SGPR: 2
; COMPUTE_PGM_RSRC2:TRAP_HANDLER: 0
; COMPUTE_PGM_RSRC2:TGID_X_EN: 1
; COMPUTE_PGM_RSRC2:TGID_Y_EN: 0
; COMPUTE_PGM_RSRC2:TGID_Z_EN: 0
; COMPUTE_PGM_RSRC2:TIDIG_COMP_CNT: 0
; COMPUTE_PGM_RSRC3_GFX90A:ACCUM_OFFSET: 63
; COMPUTE_PGM_RSRC3_GFX90A:TG_SPLIT: 0
	.text
	.p2alignl 6, 3212836864
	.fill 256, 4, 3212836864
	.type	__hip_cuid_c7efd4245d739e7c,@object ; @__hip_cuid_c7efd4245d739e7c
	.section	.bss,"aw",@nobits
	.globl	__hip_cuid_c7efd4245d739e7c
__hip_cuid_c7efd4245d739e7c:
	.byte	0                               ; 0x0
	.size	__hip_cuid_c7efd4245d739e7c, 1

	.ident	"AMD clang version 19.0.0git (https://github.com/RadeonOpenCompute/llvm-project roc-6.4.0 25133 c7fe45cf4b819c5991fe208aaa96edf142730f1d)"
	.section	".note.GNU-stack","",@progbits
	.addrsig
	.addrsig_sym __hip_cuid_c7efd4245d739e7c
	.amdgpu_metadata
---
amdhsa.kernels:
  - .agpr_count:     82
    .args:
      - .actual_access:  read_only
        .address_space:  global
        .offset:         0
        .size:           8
        .value_kind:     global_buffer
      - .actual_access:  read_only
        .address_space:  global
        .offset:         8
        .size:           8
        .value_kind:     global_buffer
      - .actual_access:  read_only
        .address_space:  global
        .offset:         16
        .size:           8
        .value_kind:     global_buffer
      - .actual_access:  read_only
        .address_space:  global
        .offset:         24
        .size:           8
        .value_kind:     global_buffer
      - .actual_access:  read_only
        .address_space:  global
        .offset:         32
        .size:           8
        .value_kind:     global_buffer
      - .offset:         40
        .size:           8
        .value_kind:     by_value
      - .address_space:  global
        .offset:         48
        .size:           8
        .value_kind:     global_buffer
      - .address_space:  global
        .offset:         56
        .size:           8
        .value_kind:     global_buffer
      - .address_space:  global
        .offset:         64
        .size:           8
        .value_kind:     global_buffer
      - .address_space:  global
        .offset:         72
        .size:           8
        .value_kind:     global_buffer
      - .offset:         80
        .size:           4
        .value_kind:     by_value
      - .address_space:  global
        .offset:         88
        .size:           8
        .value_kind:     global_buffer
      - .address_space:  global
        .offset:         96
        .size:           8
        .value_kind:     global_buffer
    .group_segment_fixed_size: 24752
    .kernarg_segment_align: 8
    .kernarg_segment_size: 104
    .language:       OpenCL C
    .language_version:
      - 2
      - 0
    .max_flat_workgroup_size: 119
    .name:           bluestein_single_fwd_len221_dim1_dp_op_CI_CI
    .private_segment_fixed_size: 0
    .sgpr_count:     66
    .sgpr_spill_count: 0
    .symbol:         bluestein_single_fwd_len221_dim1_dp_op_CI_CI.kd
    .uniform_work_group_size: 1
    .uses_dynamic_stack: false
    .vgpr_count:     338
    .vgpr_spill_count: 0
    .wavefront_size: 64
amdhsa.target:   amdgcn-amd-amdhsa--gfx950
amdhsa.version:
  - 1
  - 2
...

	.end_amdgpu_metadata
